;; amdgpu-corpus repo=ROCm/Tensile kind=harvested arch=n/a opt=n/a

/******************************************/
/* Function Prefix                        */
/******************************************/



/******************************************/
/* Begin Kernel                           */
/******************************************/

// Component.Signature.SignatureDefault
.amdgcn_target "amdgcn-amd-amdhsa--gfx908"
.text
.protected Cijk_Ailk_Bljk_HHS_BH_MT256x256x32_MI32x32x8x1_SE_1LDSB1_APM1_AF0EM8_AF1EM1_AMAS3_ASE_ASAE01_ASCE01_ASEM1_BL1_DTLA0_DTLB0_DVO0_EPS1_FL0_GLVWA2_GLVWB2_GRVW2_GSU3_GSUAMB_ISA908_IU1_K1_KLA_LBSPPA0_LBSPPB128_LPA0_LPB8_LDL1_LRVW8_LDW0_MAC_MDA2_MMFGLC_NTC0_NTD0_NEPBS0_NLCA2_NLCB1_ONLL1_OPLV0_PK0_PAP0_PGR1_PLR5_SIA3_SS0_SU0_SUM0_SUS0_SPO0_SRVW0_SSO0_SVW4_SNLL0_TT4_128_TLDS1_UMLDSA0_UMLDSB1_USFGROn1_VAW1_VSn1_VW2_VWB2_WSGRA1_WSGRB1_WG64_4_1_WGM1
.globl Cijk_Ailk_Bljk_HHS_BH_MT256x256x32_MI32x32x8x1_SE_1LDSB1_APM1_AF0EM8_AF1EM1_AMAS3_ASE_ASAE01_ASCE01_ASEM1_BL1_DTLA0_DTLB0_DVO0_EPS1_FL0_GLVWA2_GLVWB2_GRVW2_GSU3_GSUAMB_ISA908_IU1_K1_KLA_LBSPPA0_LBSPPB128_LPA0_LPB8_LDL1_LRVW8_LDW0_MAC_MDA2_MMFGLC_NTC0_NTD0_NEPBS0_NLCA2_NLCB1_ONLL1_OPLV0_PK0_PAP0_PGR1_PLR5_SIA3_SS0_SU0_SUM0_SUS0_SPO0_SRVW0_SSO0_SVW4_SNLL0_TT4_128_TLDS1_UMLDSA0_UMLDSB1_USFGROn1_VAW1_VSn1_VW2_VWB2_WSGRA1_WSGRB1_WG64_4_1_WGM1
.p2align 8
.type Cijk_Ailk_Bljk_HHS_BH_MT256x256x32_MI32x32x8x1_SE_1LDSB1_APM1_AF0EM8_AF1EM1_AMAS3_ASE_ASAE01_ASCE01_ASEM1_BL1_DTLA0_DTLB0_DVO0_EPS1_FL0_GLVWA2_GLVWB2_GRVW2_GSU3_GSUAMB_ISA908_IU1_K1_KLA_LBSPPA0_LBSPPB128_LPA0_LPB8_LDL1_LRVW8_LDW0_MAC_MDA2_MMFGLC_NTC0_NTD0_NEPBS0_NLCA2_NLCB1_ONLL1_OPLV0_PK0_PAP0_PGR1_PLR5_SIA3_SS0_SU0_SUM0_SUS0_SPO0_SRVW0_SSO0_SVW4_SNLL0_TT4_128_TLDS1_UMLDSA0_UMLDSB1_USFGROn1_VAW1_VSn1_VW2_VWB2_WSGRA1_WSGRB1_WG64_4_1_WGM1,@function
.section .rodata,#alloc
.p2align 6
.amdhsa_kernel Cijk_Ailk_Bljk_HHS_BH_MT256x256x32_MI32x32x8x1_SE_1LDSB1_APM1_AF0EM8_AF1EM1_AMAS3_ASE_ASAE01_ASCE01_ASEM1_BL1_DTLA0_DTLB0_DVO0_EPS1_FL0_GLVWA2_GLVWB2_GRVW2_GSU3_GSUAMB_ISA908_IU1_K1_KLA_LBSPPA0_LBSPPB128_LPA0_LPB8_LDL1_LRVW8_LDW0_MAC_MDA2_MMFGLC_NTC0_NTD0_NEPBS0_NLCA2_NLCB1_ONLL1_OPLV0_PK0_PAP0_PGR1_PLR5_SIA3_SS0_SU0_SUM0_SUS0_SPO0_SRVW0_SSO0_SVW4_SNLL0_TT4_128_TLDS1_UMLDSA0_UMLDSB1_USFGROn1_VAW1_VSn1_VW2_VWB2_WSGRA1_WSGRB1_WG64_4_1_WGM1
  .amdhsa_user_sgpr_kernarg_segment_ptr 1
  .amdhsa_user_sgpr_count 2
  .amdhsa_next_free_vgpr 256 // vgprs
  .amdhsa_next_free_sgpr 88 // sgprs
  .amdhsa_group_segment_fixed_size 34816 // lds bytes
  .amdhsa_private_segment_fixed_size 0
  .amdhsa_system_sgpr_workgroup_id_x 1
  .amdhsa_system_sgpr_workgroup_id_y 1
  .amdhsa_system_sgpr_workgroup_id_z 1
  .amdhsa_system_vgpr_workitem_id 0
  .amdhsa_float_denorm_mode_32 3
  .amdhsa_float_denorm_mode_16_64 3
.end_amdhsa_kernel
.text

/******************************************/
/* Optimizations and Config:              */
/******************************************/
/* ThreadTile= 64 x 4 */
/* SubGroup= 4 x 64 */
/* VectorWidthA=2 */
/* VectorWidthB=2 */
/* GlobalLoadVectorWidthA=2, GlobalLoadVectorWidthB=2 */
/* DirectToLdsA=False */
/* DirectToLdsB=False */
/* UseSgprForGRO=1 */
.amdgpu_metadata
---
amdhsa.version:
  - 1
  - 1
amdhsa.target: amdgcn-amd-amdhsa--gfx908
amdhsa.kernels:
  - .name: Cijk_Ailk_Bljk_HHS_BH_MT256x256x32_MI32x32x8x1_SE_1LDSB1_APM1_AF0EM8_AF1EM1_AMAS3_ASE_ASAE01_ASCE01_ASEM1_BL1_DTLA0_DTLB0_DVO0_EPS1_FL0_GLVWA2_GLVWB2_GRVW2_GSU3_GSUAMB_ISA908_IU1_K1_KLA_LBSPPA0_LBSPPB128_LPA0_LPB8_LDL1_LRVW8_LDW0_MAC_MDA2_MMFGLC_NTC0_NTD0_NEPBS0_NLCA2_NLCB1_ONLL1_OPLV0_PK0_PAP0_PGR1_PLR5_SIA3_SS0_SU0_SUM0_SUS0_SPO0_SRVW0_SSO0_SVW4_SNLL0_TT4_128_TLDS1_UMLDSA0_UMLDSB1_USFGROn1_VAW1_VSn1_VW2_VWB2_WSGRA1_WSGRB1_WG64_4_1_WGM1
    .symbol: 'Cijk_Ailk_Bljk_HHS_BH_MT256x256x32_MI32x32x8x1_SE_1LDSB1_APM1_AF0EM8_AF1EM1_AMAS3_ASE_ASAE01_ASCE01_ASEM1_BL1_DTLA0_DTLB0_DVO0_EPS1_FL0_GLVWA2_GLVWB2_GRVW2_GSU3_GSUAMB_ISA908_IU1_K1_KLA_LBSPPA0_LBSPPB128_LPA0_LPB8_LDL1_LRVW8_LDW0_MAC_MDA2_MMFGLC_NTC0_NTD0_NEPBS0_NLCA2_NLCB1_ONLL1_OPLV0_PK0_PAP0_PGR1_PLR5_SIA3_SS0_SU0_SUM0_SUS0_SPO0_SRVW0_SSO0_SVW4_SNLL0_TT4_128_TLDS1_UMLDSA0_UMLDSB1_USFGROn1_VAW1_VSn1_VW2_VWB2_WSGRA1_WSGRB1_WG64_4_1_WGM1.kd'
    .language:                   OpenCL C
    .language_version:
      - 2
      - 0
    .args:
      - .name:            Tensor2dSizeA
        .size:            8
        .offset:          0
        .value_kind:      by_value
        .value_type:      u64
      - .name:            Tensor2dSizeB
        .size:            8
        .offset:          8
        .value_kind:      by_value
        .value_type:      u64
      - .name:            AddressD
        .size:            8
        .offset:          16
        .value_kind:      by_value
        .value_type:      u64
      - .name:            AddressC
        .size:            8
        .offset:          24
        .value_kind:      by_value
        .value_type:      u64
      - .name:            AddressA
        .size:            8
        .offset:          32
        .value_kind:      by_value
        .value_type:      u64
      - .name:            AddressB
        .size:            8
        .offset:          40
        .value_kind:      by_value
        .value_type:      u64
      - .name:            Alpha
        .size:            4
        .offset:          48
        .value_kind:      by_value
        .value_type:      u32
      - .name:            Beta
        .size:            4
        .offset:          52
        .value_kind:      by_value
        .value_type:      u32
      - .name:            StridesD
        .size:            8
        .offset:          56
        .value_kind:      by_value
        .value_type:      u64
      - .name:            StridesC
        .size:            8
        .offset:          64
        .value_kind:      by_value
        .value_type:      u64
      - .name:            StridesA
        .size:            8
        .offset:          72
        .value_kind:      by_value
        .value_type:      u64
      - .name:            StridesB
        .size:            8
        .offset:          80
        .value_kind:      by_value
        .value_type:      u64
      - .name:            SizesFree
        .size:            12
        .offset:          88
        .value_kind:      by_value
        .value_type:      u96
      - .name:            SizesSum
        .size:            4
        .offset:          100
        .value_kind:      by_value
        .value_type:      u32
      - .name:            NumWorkGroups0
        .size:            4
        .offset:          104
        .value_kind:      by_value
        .value_type:      u32
      - .name:            NumWorkGroups1
        .size:            4
        .offset:          108
        .value_kind:      by_value
        .value_type:      u32
    .group_segment_fixed_size:   34816
    .kernarg_segment_align:      8
    .kernarg_segment_size:       112
    .max_flat_workgroup_size:    256
    .private_segment_fixed_size: 0
    .sgpr_count:                 88
    .sgpr_spill_count:           0
    .vgpr_count:                 256
    .vgpr_spill_count:           0
    .wavefront_size:             64
...
.end_amdgpu_metadata
Cijk_Ailk_Bljk_HHS_BH_MT256x256x32_MI32x32x8x1_SE_1LDSB1_APM1_AF0EM8_AF1EM1_AMAS3_ASE_ASAE01_ASCE01_ASEM1_BL1_DTLA0_DTLB0_DVO0_EPS1_FL0_GLVWA2_GLVWB2_GRVW2_GSU3_GSUAMB_ISA908_IU1_K1_KLA_LBSPPA0_LBSPPB128_LPA0_LPB8_LDL1_LRVW8_LDW0_MAC_MDA2_MMFGLC_NTC0_NTD0_NEPBS0_NLCA2_NLCB1_ONLL1_OPLV0_PK0_PAP0_PGR1_PLR5_SIA3_SS0_SU0_SUM0_SUS0_SPO0_SRVW0_SSO0_SVW4_SNLL0_TT4_128_TLDS1_UMLDSA0_UMLDSB1_USFGROn1_VAW1_VSn1_VW2_VWB2_WSGRA1_WSGRB1_WG64_4_1_WGM1:

/******************************************/
/* Asm syntax workarounds                 */
/******************************************/
.macro _v_add_co_u32 dst:req, cc:req, src0:req, src1:req, dpp=
   v_add_co_u32 \dst, \cc, \src0, \src1 \dpp
.endm

.macro _v_add_u32 dst:req, src0:req, src1:req, dpp=
   v_add_u32 \dst, \src0, \src1 \dpp
.endm

.macro _v_add_i32 dst:req, src0:req, src1:req, dpp=
   v_add_i32 \dst, \src0, \src1 \dpp
.endm

.macro _v_addc_co_u32 dst:req, ccOut:req, src0:req, ccIn:req, src1:req, dpp=
   v_addc_co_u32 \dst, \ccOut, \src0, \ccIn, \src1 \dpp
.endm

.macro _v_sub_co_u32 dst:req, cc:req, src0:req, src1:req, dpp=
   v_sub_co_u32 \dst, \cc, \src0, \src1 \dpp
.endm

.macro _v_sub_u32 dst:req, src0:req, src1:req, dpp=
   v_sub_u32 \dst, \src0, \src1 \dpp
.endm

.macro _v_sub_i32 dst:req, src0:req, src1:req, dpp=
   v_sub_i32 \dst, \src0, \src1 \dpp
.endm

.macro _v_add_lshl_u32 dst:req, src0:req, src1:req, shiftCnt:req
    v_add_lshl_u32 \dst, \src0, \src1, \shiftCnt
.endm

.macro _v_lshl_add_u32 dst:req, src0:req, src1:req, shiftCnt:req
    v_lshl_add_u32 \dst, \src0, \src1, \shiftCnt
.endm

.macro _v_lshl_or_b32 dst:req, src0:req, shiftCnt:req, src1:req
    v_lshl_or_b32 \dst, \src0, \shiftCnt, \src1
.endm

.macro _v_dot2acc_f32_f16 dst, src0, src1
v_dot2c_f32_f16 \dst, \src0, \src1
.endm

.macro _v_cmpx_lt_i16 dst, src0, src1=
   v_cmpx_lt_i16 \dst, \src0, \src1 
.endm

.macro _v_cmpx_lt_i32 dst, src0, src1=
   v_cmpx_lt_i32 \dst, \src0, \src1 
.endm

.macro _v_cmpx_lt_i64 dst, src0, src1=
   v_cmpx_lt_i64 \dst, \src0, \src1 
.endm

.macro _v_cmpx_lt_u16 dst, src0, src1=
   v_cmpx_lt_u16 \dst, \src0, \src1 
.endm

.macro _v_cmpx_lt_u32 dst, src0, src1=
   v_cmpx_lt_u32 \dst, \src0, \src1 
.endm

.macro _v_cmpx_lt_u64 dst, src0, src1=
   v_cmpx_lt_u64 \dst, \src0, \src1 
.endm

.macro _v_cmpx_eq_i16 dst, src0, src1=
   v_cmpx_eq_i16 \dst, \src0, \src1 
.endm

.macro _v_cmpx_eq_i32 dst, src0, src1=
   v_cmpx_eq_i32 \dst, \src0, \src1 
.endm

.macro _v_cmpx_eq_i64 dst, src0, src1=
   v_cmpx_eq_i64 \dst, \src0, \src1 
.endm

.macro _v_cmpx_eq_u16 dst, src0, src1=
   v_cmpx_eq_u16 \dst, \src0, \src1 
.endm

.macro _v_cmpx_eq_u32 dst, src0, src1=
   v_cmpx_eq_u32 \dst, \src0, \src1 
.endm

.macro _v_cmpx_eq_u64 dst, src0, src1=
   v_cmpx_eq_u64 \dst, \src0, \src1 
.endm

.macro _v_cmpx_le_i16 dst, src0, src1=
   v_cmpx_le_i16 \dst, \src0, \src1 
.endm

.macro _v_cmpx_le_i32 dst, src0, src1=
   v_cmpx_le_i32 \dst, \src0, \src1 
.endm

.macro _v_cmpx_le_i64 dst, src0, src1=
   v_cmpx_le_i64 \dst, \src0, \src1 
.endm

.macro _v_cmpx_le_u16 dst, src0, src1=
   v_cmpx_le_u16 \dst, \src0, \src1 
.endm

.macro _v_cmpx_le_u32 dst, src0, src1=
   v_cmpx_le_u32 \dst, \src0, \src1 
.endm

.macro _v_cmpx_le_u64 dst, src0, src1=
   v_cmpx_le_u64 \dst, \src0, \src1 
.endm

.macro _v_cmpx_gt_i16 dst, src0, src1=
   v_cmpx_gt_i16 \dst, \src0, \src1 
.endm

.macro _v_cmpx_gt_i32 dst, src0, src1=
   v_cmpx_gt_i32 \dst, \src0, \src1 
.endm

.macro _v_cmpx_gt_i64 dst, src0, src1=
   v_cmpx_gt_i64 \dst, \src0, \src1 
.endm

.macro _v_cmpx_gt_u16 dst, src0, src1=
   v_cmpx_gt_u16 \dst, \src0, \src1 
.endm

.macro _v_cmpx_gt_u32 dst, src0, src1=
   v_cmpx_gt_u32 \dst, \src0, \src1 
.endm

.macro _v_cmpx_gt_u64 dst, src0, src1=
   v_cmpx_gt_u64 \dst, \src0, \src1 
.endm

.macro _v_cmpx_ne_i16 dst, src0, src1=
   v_cmpx_ne_i16 \dst, \src0, \src1 
.endm

.macro _v_cmpx_ne_i32 dst, src0, src1=
   v_cmpx_ne_i32 \dst, \src0, \src1 
.endm

.macro _v_cmpx_ne_i64 dst, src0, src1=
   v_cmpx_ne_i64 \dst, \src0, \src1 
.endm

.macro _v_cmpx_ne_u16 dst, src0, src1=
   v_cmpx_ne_u16 \dst, \src0, \src1 
.endm

.macro _v_cmpx_ne_u32 dst, src0, src1=
   v_cmpx_ne_u32 \dst, \src0, \src1 
.endm

.macro _v_cmpx_ne_u64 dst, src0, src1=
   v_cmpx_ne_u64 \dst, \src0, \src1 
.endm

.macro _v_cmpx_lg_i16 dst, src0, src1=
   v_cmpx_lg_i16 \dst, \src0, \src1 
.endm

.macro _v_cmpx_lg_i32 dst, src0, src1=
   v_cmpx_lg_i32 \dst, \src0, \src1 
.endm

.macro _v_cmpx_lg_i64 dst, src0, src1=
   v_cmpx_lg_i64 \dst, \src0, \src1 
.endm

.macro _v_cmpx_lg_u16 dst, src0, src1=
   v_cmpx_lg_u16 \dst, \src0, \src1 
.endm

.macro _v_cmpx_lg_u32 dst, src0, src1=
   v_cmpx_lg_u32 \dst, \src0, \src1 
.endm

.macro _v_cmpx_lg_u64 dst, src0, src1=
   v_cmpx_lg_u64 \dst, \src0, \src1 
.endm

.macro _v_cmpx_ge_i16 dst, src0, src1=
   v_cmpx_ge_i16 \dst, \src0, \src1 
.endm

.macro _v_cmpx_ge_i32 dst, src0, src1=
   v_cmpx_ge_i32 \dst, \src0, \src1 
.endm

.macro _v_cmpx_ge_i64 dst, src0, src1=
   v_cmpx_ge_i64 \dst, \src0, \src1 
.endm

.macro _v_cmpx_ge_u16 dst, src0, src1=
   v_cmpx_ge_u16 \dst, \src0, \src1 
.endm

.macro _v_cmpx_ge_u32 dst, src0, src1=
   v_cmpx_ge_u32 \dst, \src0, \src1 
.endm

.macro _v_cmpx_ge_u64 dst, src0, src1=
   v_cmpx_ge_u64 \dst, \src0, \src1 
.endm

.macro _v_cmpx_o_i16 dst, src0, src1=
   v_cmpx_o_i16 \dst, \src0, \src1 
.endm

.macro _v_cmpx_o_i32 dst, src0, src1=
   v_cmpx_o_i32 \dst, \src0, \src1 
.endm

.macro _v_cmpx_o_i64 dst, src0, src1=
   v_cmpx_o_i64 \dst, \src0, \src1 
.endm

.macro _v_cmpx_o_u16 dst, src0, src1=
   v_cmpx_o_u16 \dst, \src0, \src1 
.endm

.macro _v_cmpx_o_u32 dst, src0, src1=
   v_cmpx_o_u32 \dst, \src0, \src1 
.endm

.macro _v_cmpx_o_u64 dst, src0, src1=
   v_cmpx_o_u64 \dst, \src0, \src1 
.endm

.macro _v_cmpx_u_i16 dst, src0, src1=
   v_cmpx_u_i16 \dst, \src0, \src1 
.endm

.macro _v_cmpx_u_i32 dst, src0, src1=
   v_cmpx_u_i32 \dst, \src0, \src1 
.endm

.macro _v_cmpx_u_i64 dst, src0, src1=
   v_cmpx_u_i64 \dst, \src0, \src1 
.endm

.macro _v_cmpx_u_u16 dst, src0, src1=
   v_cmpx_u_u16 \dst, \src0, \src1 
.endm

.macro _v_cmpx_u_u32 dst, src0, src1=
   v_cmpx_u_u32 \dst, \src0, \src1 
.endm

.macro _v_cmpx_u_u64 dst, src0, src1=
   v_cmpx_u_u64 \dst, \src0, \src1 
.endm
.macro _v_mac_f32 c:req, a:req, b:req
    v_mac_f32 \c, \a, \b
.endmacro

/* scale global load macros */
.macro _s_load_b32 dst base offset
    s_load_dword \dst \base \offset
.endm

.macro _s_load_b64 dst base offset
    s_load_dwordx2 \dst \base \offset
.endm

.macro _s_load_b128 dst base offset
    s_load_dwordx4 \dst \base \offset
.endm

.macro _s_load_b256 dst base offset
    s_load_dwordx8 \dst \base \offset
.endm

.macro _s_load_b512 dst base offset
    s_load_dwordx16 \dst \base \offset
.endm


/* ds operation macros */
.macro _ds_load_u8 dst src offset
    ds_read_u8 \dst \src \offset
.endm

.macro _ds_load_u8_d16_hi dst src offset
    ds_read_u8_d16_hi \dst \src \offset
.endm

.macro _ds_load_u16 dst src offset
    ds_read_u16 \dst \src \offset
.endm

.macro _ds_load_u16_d16_hi dst src offset
    ds_read_u16_d16_hi \dst \src \offset
.endm

.macro _ds_load_b32 dst src offset
    ds_read_b32 \dst \src \offset
.endm

.macro _ds_load_b64 dst src offset
    ds_read_b64 \dst \src \offset
.endm

.macro _ds_load_b128 dst src offset
    ds_read_b128 \dst \src \offset
.endm

.macro _ds_store_b8 dst src offset
    ds_write_b8 \dst \src \offset
.endm

.macro _ds_store_b8_d16_hi dst src offset
    ds_write_b8_d16_hi \dst \src \offset
.endm

.macro _ds_store_b16 dst src offset
    ds_write_b16 \dst \src \offset
.endm

.macro _ds_store_b16_d16_hi dst src offset
    ds_write_b16_d16_hi \dst \src \offset
.endm

.macro _ds_store_b32 dst src offset
    ds_write_b32 \dst \src \offset
.endm

.macro _ds_store_b64 dst src offset
    ds_write_b64 \dst \src \offset
.endm

.macro _ds_store_b128 dst src offset
    ds_write_b128 \dst \src \offset
.endm

.macro _ds_load2_b32 dst src offset1 offset2
    ds_read2_b32 \dst \src \offset1 \offset2
.endm

.macro _ds_load2_b64 dst src offset1 offset2
    ds_read2_b64 \dst \src \offset1 \offset2
.endm

.macro _ds_store2_b32 dst src offset1 offset2
    ds_write2_b32 \dst \src \offset1 \offset2
.endm

.macro _ds_store2_b64 dst src offset1 offset2
    ds_write2_b64 \dst \src \offset1 \offset2
.endm


/* buffer memory operation macros */
.macro _buffer_load_b32 dst voffset base soffset offen ioffset md0 md1 md2
    buffer_load_dword \dst \voffset \base \soffset \offen \ioffset \md0 \md1 \md2
.endm

.macro _buffer_load_b64 dst voffset base soffset offen ioffset md0 md1 md2
    buffer_load_dwordx2 \dst \voffset \base \soffset \offen \ioffset \md0 \md1 \md2
.endm

.macro _buffer_load_b96 dst voffset base soffset offen ioffset md0 md1 md2
    buffer_load_dwordx3 \dst \voffset \base \soffset \offen \ioffset \md0 \md1 \md2
.endm

.macro _buffer_load_b128 dst voffset base soffset offen ioffset md0 md1 md2
    buffer_load_dwordx4 \dst \voffset \base \soffset \offen \ioffset \md0 \md1 \md2
.endm

.macro _buffer_load_d16_b16 dst voffset base soffset offen ioffset md0 md1 md2
    buffer_load_short_d16 \dst \voffset \base \soffset \offen \ioffset \md0 \md1 \md2
.endm

.macro _buffer_load_d16_hi_b16 dst voffset base soffset offen ioffset md0 md1 md2
    buffer_load_short_d16_hi \dst \voffset \base \soffset \offen \ioffset \md0 \md1 \md2
.endm

.macro _buffer_load_d16_u8 dst voffset base soffset offen ioffset md0 md1 md2
    buffer_load_ubyte_d16 \dst \voffset \base \soffset \offen \ioffset \md0 \md1 \md2
.endm

.macro _buffer_load_d16_hi_u8 dst voffset base soffset offen ioffset md0 md1 md2
    buffer_load_ubyte_d16_hi \dst \voffset \base \soffset \offen \ioffset \md0 \md1 \md2
.endm

.macro _buffer_load_u16 dst voffset base soffset offen ioffset md0 md1 md2
    buffer_load_ushort \dst \voffset \base \soffset \offen \ioffset \md0 \md1 \md2
.endm

.macro _buffer_load_b32_dtl voffset base soffset offen ioffset md0 md1 md2
    buffer_load_dword \voffset \base \soffset \offen \ioffset \md0 \md1 \md2
.endm

.macro _buffer_load_b64_dtl voffset base soffset offen ioffset md0 md1 md2
    buffer_load_dwordx2 \voffset \base \soffset \offen \ioffset \md0 \md1 \md2
.endm

.macro _buffer_load_b128_dtl voffset base soffset offen ioffset md0 md1 md2
    buffer_load_dwordx4 \voffset \base \soffset \offen \ioffset \md0 \md1 \md2
.endm

.macro _buffer_load_u16_dtl voffset base soffset offen ioffset md0 md1 md2
    buffer_load_ushort \voffset \base \soffset \offen \ioffset \md0 \md1 \md2
.endm

.macro _buffer_store_b32 src voffset base soffset offen ioffset md0 md1 md2
    buffer_store_dword \src \voffset \base \soffset \offen \ioffset \md0 \md1 \md2
.endm

.macro _buffer_store_b64 src voffset base soffset offen ioffset md0 md1 md2
    buffer_store_dwordx2 \src \voffset \base \soffset \offen \ioffset \md0 \md1 \md2
.endm

.macro _buffer_store_b96 src voffset base soffset offen ioffset md0 md1 md2
    buffer_store_dwordx3 \src \voffset \base \soffset \offen \ioffset \md0 \md1 \md2
.endm

.macro _buffer_store_b128 src voffset base soffset offen ioffset md0 md1 md2
    buffer_store_dwordx4 \src \voffset \base \soffset \offen \ioffset \md0 \md1 \md2
.endm

.macro _buffer_store_b16 src voffset base soffset offen ioffset md0 md1 md2
    buffer_store_short \src \voffset \base \soffset \offen \ioffset \md0 \md1 \md2
.endm

.macro _buffer_store_d16_hi_b16 src voffset base soffset offen ioffset md0 md1 md2
    buffer_store_short_d16_hi \src \voffset \base \soffset \offen \ioffset \md0 \md1 \md2
.endm

.macro _buffer_store_b8 src voffset base soffset offen ioffset md0 md1 md2
    buffer_store_byte \src \voffset \base \soffset \offen \ioffset \md0 \md1 \md2
.endm

.macro _buffer_store_d16_hi_b8 src voffset base soffset offen ioffset md0 md1 md2
    buffer_store_byte_d16_hi \src \voffset \base \soffset \offen \ioffset \md0 \md1 \md2
.endm

.macro _buffer_atomic_cmpswap_b32 dst voffset base soffset offen ioffset md0 md1 md2
    buffer_atomic_cmpswap \dst \voffset \base \soffset \offen \ioffset \md0 \md1 \md2
.endm

.macro _buffer_atomic_cmpswap_b64 dst voffset base soffset offen ioffset md0 md1 md2
    buffer_atomic_cmpswap_x2 \dst \voffset \base \soffset \offen \ioffset \md0 \md1 \md2
.endm


/* buffer memory operation macros */
.macro _global_load_b32 dst base src ioffset md0 md1 md2
    global_load_dword \dst \base \src \ioffset \md0 \md1 \md2
.endm

.macro _global_load_b64 dst base src ioffset md0 md1 md2
    global_load_dwordx2 \dst \base \src \ioffset \md0 \md1 \md2
.endm

.macro _global_load_b96 dst base src ioffset md0 md1 md2
    global_load_dwordx3 \dst \base \src \ioffset \md0 \md1 \md2
.endm

.macro _global_load_b128 dst base src ioffset md0 md1 md2
    global_load_dwordx4 \dst \base \src \ioffset \md0 \md1 \md2
.endm

.macro _global_load_d16_b16 dst base src ioffset md0 md1 md2
    global_load_short_d16 \dst \base \src \ioffset \md0 \md1 \md2
.endm

.macro _global_load_d16_hi_b16 dst base src ioffset md0 md1 md2
    global_load_short_d16_hi \dst \base \src \ioffset \md0 \md1 \md2
.endm

.macro _global_load_d16_u8 dst base src ioffset md0 md1 md2
    global_load_ubyte_d16 \dst \base \src \ioffset \md0 \md1 \md2
.endm

.macro _global_load_d16_hi_u8 dst base src ioffset md0 md1 md2
    global_load_ubyte_d16_hi \dst \base \src \ioffset \md0 \md1 \md2
.endm

.macro _global_load_u16 dst base src ioffset md0 md1 md2
    global_load_ushort \dst \base \src \ioffset \md0 \md1 \md2
.endm

.macro _global_store_b32 base src src2 md0 md1 md2
    global_store_dword \base \src \src2 \md0 \md1 \md2
.endm

.macro _global_store_b64 base src src2 md0 md1 md2
    global_store_dwordx2 \base \src \src2 \md0 \md1 \md2
.endm

.macro _global_store_b96 base src src2 md0 md1 md2
    global_store_dwordx3 \base \src \src2 \md0 \md1 \md2
.endm

.macro _global_store_b128 base src src2 md0 md1 md2
    global_store_dwordx4 \base \src \src2 \md0 \md1 \md2
.endm

.macro _global_store_d16_b16 base src src2 md0 md1 md2
    global_store_short \base \src \src2 \md0 \md1 \md2
.endm

.macro _global_store_d16_hi_b16 base src src2 md0 md1 md2
    global_store_short_d16_hi \base \src \src2 \md0 \md1 \md2
.endm

.macro _global_store_d16_u8 base src src2 md0 md1 md2
    global_store_ubyte_d16 \base \src \src2 \md0 \md1 \md2
.endm

.macro _global_store_d16_hi_u8 base src src2 md0 md1 md2
    global_store_ubyte_d16_hi \base \src \src2 \md0 \md1 \md2
.endm

.macro _global_store_u16 base src src2 md0 md1 md2
    global_store_ushort \base \src \src2 \md0 \md1 \md2
.endm

.macro _global_atomic_cmpswap_b32 tmp base data src ioffset md
    global_atomic_cmpswap \tmp \base \data \src \ioffset \md
.endm

.macro _global_atomic_cmpswap_b64 tmp base data src ioffset md
    global_atomic_cmpswap_x2 \tmp \base \data \src \ioffset \md
.endm


/******************************************/
/* Magic div and mod functions            */
/******************************************/
.macro V_MAGIC_DIV dstIdx:req, dividend:req, magicNumber:req, magicShift:req, magicA:req
    v_mul_hi_u32 v[\dstIdx+1], \dividend, \magicNumber
    v_mul_lo_u32 v[\dstIdx+0], \dividend, \magicA
    _v_add_u32 v[\dstIdx+0], v[\dstIdx+0], v[\dstIdx+1]
    v_lshrrev_b32 v[\dstIdx+0], \magicShift, v[\dstIdx+0]
.endm

/******************************************/
/* VGPR Assignments                       */
/******************************************/
/* ValuC range: [0-0), serializedStore enabled */
.set vgprValuC, 0
/* ValuA/B   Xn=PLR buffer idx,  In=InnerUnroll idx */
.set vgprValuA_X0_I0, 0
.set vgprValuA_X1_I0, 8
.set vgprValuA_X2_I0, 16
.set vgprValuA_X3_I0, 24
.set vgprG2LA, 68
.set vgprValuB_X0_I0, 32
.set vgprValuB_X1_I0, 40
.set vgprValuB_X2_I0, 48
.set vgprValuB_X3_I0, 56
.set vgprG2LB, 84
.set vgprLocalWriteAddrA, 64
.set vgprLocalWriteAddrB, 65
.set vgprGlobalReadOffsetA, 66
.set vgprGlobalReadOffsetB, 67
.set vgprLocalReadAddrA, 100
.set vgprLocalReadAddrB, 101
.set vgprSerial, 102
/* Num VGPR=256 */
/* Num AccVGPR=256 */

/******************************************/
/* SGPR Assignments                       */
/******************************************/
.set sgprKernArgAddress, 0 // (2)
.set sgprWorkGroup0, 2 // (1)
.set sgprWorkGroup1, 3 // (1)
.set sgprWorkGroup2, 4 // (1)
.set sgprGSUSumIdx, 5 // (2)
.set sgprLoopCounterL, 7 // (1)
.set sgprOrigLoopCounter, 8 // (1)
.set sgprSrdA, 12 // (4)
.set sgprSrdB, 16 // (4)
.set sgprSrdD, 20 // (4)
.set sgprSrdC, 24 // (4)
.set sgprTensor2dSizeA, 28 // (2)
.set sgprTensor2dSizeB, 30 // (2)
.set sgprAddressD, 32 // (2)
.set sgprAddressC, 34 // (2)
.set sgprAddressA, 36 // (2)
.set sgprAddressB, 38 // (2)
.set sgprAlpha, 40 // (1)
.set sgprBeta, 41 // (1)
.set sgprStridesD, 42 // (2)
.set sgprStridesC, 44 // (2)
.set sgprStridesA, 46 // (2)
.set sgprStridesB, 48 // (2)
.set sgprSizesFree, 50 // (3)
.set sgprSizesSum, 53 // (1)
.set sgprNumWorkGroups0, 54 // (1)
.set sgprNumWorkGroups1, 55 // (1)
.set sgprShadowLimitA, 0 // (2)
.set sgprShadowLimitB, 32 // (2)
.set sgprGlobalReadIncsA, 9 // (1)
.set sgprGlobalReadIncsB, 34 // (1)
.set sgprScalarGlobalReadOffsetA, 56 // (15)
.set sgprScalarGlobalReadOffsetB, 71 // (15)
/* max SGPR=88 */

/* Size Assignments */
.set sgprSizeI, sgprSizesFree+0
.set sgprSizeJ, sgprSizesFree+1
.set sgprSizeK, sgprSizesFree+2
.set sgprSizeL, sgprSizesSum+0

/* Stride Assignments */
.set constStrideD0I, 1
.set sgprStrideD1J, sgprStridesD+0
.set sgprStrideDK, sgprStridesD+1
.set constStrideC0I, 1
.set sgprStrideC1J, sgprStridesC+0
.set sgprStrideCK, sgprStridesC+1
.set constStrideA0I, 1
.set sgprStrideAL, sgprStridesA+0
.set sgprStrideAK, sgprStridesA+1
.set constStrideBL, 1
.set sgprStrideB1J, sgprStridesB+0
.set sgprStrideBK, sgprStridesB+1

.set MT0, 256
.set MT1, 256
.set DepthU, 32
.set GSU, 3
.set BpeA, 2
.set BpeALog2, 1
.set BpeB, 2
.set BpeBLog2, 1
/* Number of elements to shift-left SRD */
.set SrdShiftLeftA, 2
.set SrdShiftLeftB, 2
/* 2GB limit - set offsets to -1 to exceed this and clamp */
.set BufferLimitA, 0xffffffff
.set BufferLimitB, 0xffffffff
.set BufferOOB, 0xfffff000

/******************************************/
/* Bits 127:96 of SRD.                    */
/* hex: 0x00020000                        */
/* dst_sel_x (3b): 0                      */
/* dst_sel_y (3b): 0                      */
/* dst_sel_z (3b): 0                      */
/* dst_sel_w (3b): 0                      */
/* num_format (3b): 0                     */
/* data_format (4b): 4                    */
/* user_vm_enable (1b): 0                 */
/* user_vm_mode (1b): 0                   */
/* index_stride (2b): 0                   */
/* add_tid_enable (1b): 0                 */
/* _unusedA (3b): 0                       */
/* nv (1b): 0                             */
/* _unusedB (2b): 0                       */
/* type (2b): 0                           */
/******************************************/
.set Srd127_96, 0x00020000

/* Global Offset A */
.macro GLOBAL_OFFSET_A vgprAddr:req vgprOffset0I:req vgprOffsetL:req vgprTmp:req
v_mul_lo_u32 v[\vgprTmp+0], s[sgprStrideAL], v[\vgprOffsetL] // mul d1 lower
_v_add_co_u32 v[\vgprAddr+0], vcc, v[\vgprOffset0I], v[\vgprTmp+0] // accumulate K lower
_v_add_u32 v[\vgprAddr+0], 0x2, v[\vgprAddr+0]     // add prepad for pointer shift
v_lshlrev_b32 v[\vgprAddr+0], 0x1, v[\vgprAddr+0]  // offset *= bytes/element
.endm

/* Global Offset B */
.macro GLOBAL_OFFSET_B vgprAddr:req vgprOffsetL:req vgprOffset1J:req vgprTmp:req
v_mul_lo_u32 v[\vgprTmp+0], s[sgprStrideB1J], v[\vgprOffset1J] // mul d1 lower
_v_add_co_u32 v[\vgprAddr+0], vcc, v[\vgprOffsetL], v[\vgprTmp+0] // accumulate K lower
_v_add_u32 v[\vgprAddr+0], 0x2, v[\vgprAddr+0]     // add prepad for pointer shift
v_lshlrev_b32 v[\vgprAddr+0], 0x1, v[\vgprAddr+0]  // offset *= bytes/element
.endm

/******************************************/
/* Dynamic Scalar Divide: vQuotient=vDividend/vDivisor; vRemainder=vDividend%vDivisor; */
/******************************************/
.macro DYNAMIC_VECTOR_DIVIDE vQuotient vRemainder vDividend vDivisor vTmp0 vTmp1 sTmp
v_cvt_f32_u32 v[\vQuotient], v[\vDivisor]          // 
v_rcp_f32 v[\vQuotient], v[\vQuotient]             // 
v_mul_f32 v[\vQuotient], 0x4f800000, v[\vQuotient] // 
v_cvt_u32_f32 v[\vQuotient], v[\vQuotient]         // 
v_mul_lo_u32 v[\vRemainder], v[\vDivisor], v[\vQuotient] // 
v_mul_hi_u32 v[\vTmp0], v[\vDivisor], v[\vQuotient] // 
_v_sub_co_u32 v[\vTmp1], vcc, 0x0, v[\vRemainder]  // 
v_cmp_ne_i32 s[\sTmp:\sTmp+1], 0x0, v[\vTmp0]      // 
v_cndmask_b32 v[\vRemainder], v[\vTmp1], v[\vRemainder], s[\sTmp:\sTmp+1] // 
v_mul_hi_u32 v[\vRemainder], v[\vRemainder], v[\vQuotient] // 
_v_sub_co_u32 v[\vTmp0], vcc, v[\vQuotient], v[\vRemainder] // 
_v_add_co_u32 v[\vQuotient], vcc, v[\vQuotient], v[\vRemainder] // 
v_cndmask_b32 v[\vQuotient], v[\vQuotient], v[\vTmp0], s[\sTmp:\sTmp+1] // 
v_mul_hi_u32 v[\vQuotient], v[\vQuotient], v[\vDividend] // 
v_mul_lo_u32 v[\vRemainder], v[\vQuotient], v[\vDivisor] // 
_v_sub_co_u32 v[\vTmp0], vcc, v[\vDividend], v[\vRemainder] // 
v_cmp_ge_u32 s[\sTmp:\sTmp+1], v[\vDividend], v[\vRemainder] // 
_v_add_co_u32 v[\vRemainder], vcc, 0x1, v[\vQuotient] // 
_v_add_co_u32 v[\vTmp1], vcc, -1, v[\vQuotient]    // 
v_cmp_le_u32 vcc, v[\vDivisor], v[\vTmp0]          // 
s_and_b64 vcc, s[\sTmp:\sTmp+1], vcc               // 
v_cndmask_b32 v[\vQuotient], v[\vQuotient], v[\vRemainder], vcc // 
v_cndmask_b32 v[\vQuotient], v[\vTmp1], v[\vQuotient], s[\sTmp:\sTmp+1] // 
v_cmp_ne_i32 vcc, 0x0, v[\vDivisor]                // 
v_cndmask_b32 v[\vQuotient], -1, v[\vQuotient], vcc // final result
v_mul_lo_u32 v[\vRemainder], v[\vQuotient], v[\vDivisor] // 
_v_sub_co_u32 v[\vRemainder], vcc, v[\vDividend], v[\vRemainder] // final result
.endm


	;; [unrolled: 1-line block ×3, first 2 shown]
/******************************************/
/* Allocate Resources                     */
/******************************************/

Cijk_Ailk_Bljk_HHS_BH_MT256x256x32_MI32x32x8x1_SE_1LDSB1_APM1_AF0EM8_AF1EM1_AMAS3_ASE_ASAE01_ASCE01_ASEM1_BL1_DTLA0_DTLB0_DVO0_EPS1_FL0_GLVWA2_GLVWB2_GRVW2_GSU3_GSUAMB_ISA908_IU1_K1_KLA_LBSPPA0_LBSPPB128_LPA0_LPB8_LDL1_LRVW8_LDW0_MAC_MDA2_MMFGLC_NTC0_NTD0_NEPBS0_NLCA2_NLCB1_ONLL1_OPLV0_PK0_PAP0_PGR1_PLR5_SIA3_SS0_SU0_SUM0_SUS0_SPO0_SRVW0_SSO0_SVW4_SNLL0_TT4_128_TLDS1_UMLDSA0_UMLDSB1_USFGROn1_VAW1_VSn1_VW2_VWB2_WSGRA1_WSGRB1_WG64_4_1_WGM1_preloaded: // Kernel start when preloading

/* Load Kernel Args */
_s_load_b512 s[28:43], s[sgprKernArgAddress:sgprKernArgAddress+1], 0x0 // 
_s_load_b256 s[44:51], s[sgprKernArgAddress:sgprKernArgAddress+1], 0x40 // 
_s_load_b128 s[52:55], s[sgprKernArgAddress:sgprKernArgAddress+1], 0x60 // 
s_mov_b32 m0, 0x8800                               // LDS clamp at 34816 bytes
v_mov_b32 v[vgprSerial], v0                        // thread serial id

/******************************************/
/* Local Read Addresses                   */
/******************************************/


/* local read addresses: tile assignments a/b */

/*lr0I*/
v_and_b32 v1, 63, v[vgprSerial]                    // 0. thread id in wave: wtid = tid % wavelength(64)
v_and_b32 v0, 31, v1                               // 1. N offset: nIdx = wtid % MI_N(32)
                                                   // 1. N offset: nOffset = nIdx * nStride(1) (multiplier is 1, do nothing)
                                                   // 2. block offset: bnIdx = bnIdx % num1DBlocks(1) is 0. do nothing
v_lshlrev_b32 v0, 0x1, v0                          // 4. apply VectorWidth: bnOffset = bnOffset * vw(2)
v_lshrrev_b32 v1, 5, v1                            // 5. K offset: kIdx = wtid / (MIN(32) * MIBB(1))
v_lshlrev_b32 v1, 0xb, v1                          // 5. K offset: lrKOffset = kIdx * mStride(2048)
_v_add_u32 v0, v1, v0                              // 6. offset in wave: lrOffset = bnOffset + lrKOffset
v_lshrrev_b32 v2, 6, v[vgprSerial]                 // 7. wave offset in N dimen: wtid = tid / dividedForWaveId(64)
v_and_b32 v1, 1, v2                                // 7. wave offset in M dimen: wtid0 = wtid / num1DWaves(2)
v_lshlrev_b32 v1, 0x6, v1                          // 7. wave offset in M dimen: wOffset = wtid0 * W0Stride(64)
_v_add_u32 v0, v1, v0                              // 8. final local read offset: flrOffset = lrOffset + WOffset
/*lr1J*/
v_and_b32 v2, 63, v[vgprSerial]                    // 0. thread id in wave: wtid = tid % wavelength(64)
v_and_b32 v1, 31, v2                               // 1. N offset: nIdx = wtid % MI_N(32)
v_lshlrev_b32 v1, 0x5, v1                          // 1. N offset: nOffset = nIdx * nStride(32)
                                                   // 2. block offset: bnIdx = bnIdx % num1DBlocks(1) is 0. do nothing
v_lshlrev_b32 v1, 0x1, v1                          // 4. apply VectorWidth: bnOffset = bnOffset * vw(2)
v_lshrrev_b32 v2, 5, v2                            // 5. K offset: kIdx = wtid / (MIN(32) * MIBB(1))
v_lshlrev_b32 v2, 0x3, v2                          // 5. K offset: lrKOffset = kIdx * mStride(8)
_v_add_u32 v1, v2, v1                              // 6. offset in wave: lrOffset = bnOffset + lrKOffset
v_lshrrev_b32 v3, 7, v[vgprSerial]                 // 7. wave offset in N dimen: wtid = tid / dividedForWaveId(128)
v_and_b32 v2, 1, v3                                // 7. wave offset in M dimen: wtid0 = wtid / num1DWaves(2)
v_lshlrev_b32 v2, 0xb, v2                          // 7. wave offset in M dimen: wOffset = wtid0 * W0Stride(2048)
_v_add_u32 v1, v2, v1                              // 8. final local read offset: flrOffset = lrOffset + WOffset


/* local read addresses: final offsets a */

v_lshlrev_b32 v[vgprLocalReadAddrA], 0x1, v0       // Final Offset: offset = (lro0)*bpe


/* local read addresses: final offsets b */

v_lshlrev_b32 v[vgprLocalReadAddrB], 0x1, v1       // Final Offset: offset = (lro1)*bpe
v_lshrrev_b32 v0, 7, v[vgprLocalReadAddrB]         // Final Offset: padding 8 per block 128
v_lshlrev_b32 v0, 0x4, v0                          // Final Offset: padding 8 per block 128
_v_add_u32 v[vgprLocalReadAddrB], v0, v[vgprLocalReadAddrB] // Final Offset: add padding 8 per block 128


/* local read addresses: declare addresses a */

/* N/A */


/* local read addresses: declare addresses b */

_v_add_co_u32 v[vgprLocalReadAddrB+0], vcc, 0x4000, v[vgprLocalReadAddrB+0] //  += LdsOffsetB (lower)


/* global read addresses: tile offset assignment a */

/* LVCA = 64 */
/* v0 = (local)groA-tile = serial%LVCA (note (wgA*MTA) will be added to SRD) */
/* v1 = groA-unroll = serial/LVCA */
v_and_b32 v2, 63, v[vgprSerial]                    // v2 = v[vgprSerial] % 64
v_lshrrev_b32 v1, 6, v2                            // v1 = v2 / 64
v_and_b32 v0, 63, v2                               // v0 = v2 % 64
v_readfirstlane_b32 s10, v[vgprSerial]             // WaveIdxWavefrontWidth
s_lshr_b32 s10, s10, 0x6                           // WaveId
s_mul_i32 s10, s10, 8                              // Global Read Wave: each wave loads continuous lsp(1)*nrp(8) columns
_v_add_u32 v1, s10, v1                             // Global Read Wave: add back to column index
/* gro-tile *= glvw */
v_lshlrev_b32 v0, 0x1, v0                          // v0 = v0 * 2
v_mov_b32 v2, v1                                   // copy for GlobalSplitU


/* global read addresses: tile offset assignment b */

/* LVCB = 16 */
/* v3 = (local)groB-tile = serial/LVCB (note (wgB*MTB) will be added to SRD) */
/* v4 = groB-unroll = serial%LVCB */
v_and_b32 v5, 63, v[vgprSerial]                    // v5 = v[vgprSerial] % 64
v_lshrrev_b32 v3, 4, v5                            // v3 = v5 / 16
v_and_b32 v4, 15, v5                               // v4 = v5 % 16
v_readfirstlane_b32 s10, v[vgprSerial]             // WaveIdxWavefrontWidth
s_lshr_b32 s10, s10, 0x6                           // WaveId
s_mul_i32 s10, s10, 64                             // Global Read Wave: each wave loads continuous lsp(4)*nrp(16) columns
_v_add_u32 v3, s10, v3                             // Global Read Wave: add back to column index
/* gro-unroll *= glvw */
v_lshlrev_b32 v4, 0x1, v4                          // v4 = v4 * 2
v_mov_b32 v5, v4                                   // copy for GlobalSplitU


/******************************************/
/* Local Write Addresses                  */
/******************************************/

/* lwaTileAssignmentA = v0 */

/* lwaTileAssignmentB = v3 */

/* lwaUnrollAssignmentA = v2 */

/* lwaUnrollAssignmentB = v5 */


/* local write addresses: first offset a */

v_mul_u32_u24 v[vgprLocalWriteAddrA], 0x100, v2    // lwAL**(MTA + PAD)
_v_add_lshl_u32 v[vgprLocalWriteAddrA], v0, v[vgprLocalWriteAddrA], 0x1 // lwFOA = (lwAA + lwAL*(MT0I+PAD))*bpe


/* local write addresses: first offset b */

v_mul_u32_u24 v[vgprLocalWriteAddrB], 0x20, v3     // lwBL**(DepthU_Compute + PAD)
_v_add_lshl_u32 v[vgprLocalWriteAddrB], v5, v[vgprLocalWriteAddrB], 0x1 // lwFOB = (lwBB + lwBL*(DepthU+PAD))*bpe
v_lshrrev_b32 v6, 7, v[vgprLocalWriteAddrB]        // padding 8 per block 128
v_lshlrev_b32 v6, 0x4, v6                          // padding 8 per block 128
_v_add_u32 v[vgprLocalWriteAddrB], v6, v[vgprLocalWriteAddrB] // add padding 8 per block 128
_v_add_co_u32 v[vgprLocalWriteAddrB], vcc, 0x4000, v[vgprLocalWriteAddrB] // lwFOB = lwB1J + lwBL*MT1J + LDS_OFFSET_B=8192*2


	;; [unrolled: 1-line block ×7, first 2 shown]
s_waitcnt lgkmcnt(0)                               // wait for 112 bytes of kern args
s_mov_b64 s[sgprSrdC+0:sgprSrdC+0+1], s[sgprAddressC+0:sgprAddressC+0+1] // copy addressC
s_mov_b64 s[sgprSrdD+0:sgprSrdD+0+1], s[sgprAddressD+0:sgprAddressD+0+1] // copy addressD
s_sub_u32 s[sgprSrdA+0], s[sgprAddressA+0], 4      // pre-pad to make room for possible pointer shift
s_subb_u32 s[sgprSrdA+1], s[sgprAddressA+1], 0     // pre-pad to make room for possible pointer shift
s_sub_u32 s[sgprSrdB+0], s[sgprAddressB+0], 4      // pre-pad to make room for possible pointer shift
s_subb_u32 s[sgprSrdB+1], s[sgprAddressB+1], 0     // pre-pad to make room for possible pointer shift

.set AddressD, UNDEF
.set AddressC, UNDEF
.set AddressA, UNDEF
.set AddressB, UNDEF

/* Short circuit condition if Alpha == 0, then sumDims=0 */
v_cmp_eq_f32 vcc, s[sgprAlpha], 0.0                // Alpha == 0.0f ?
s_cbranch_vccz label_AlphaNonZero                  // branch if alpha != 0
s_mov_b32 s[sgprSizesSum+0], 0x0                   // Set summation dim=0 if Alpha == 0
label_AlphaNonZero:


	;; [unrolled: 1-line block ×3, first 2 shown]
/******************************************/
/* Begin setupNewTile, isPap=False           */
/******************************************/


/* global read addresses: work-group */

/* graWorkGroup mapping */
// GSU-not-WGMapRR :nwg1 = (size1J + MT1J - 1) / MT1J;
s_mov_b32 s38, s[sgprWorkGroup1]                   // copying for divisor
s_mov_b32 s37, 0x0                                 // STATIC_DIV: divisior=3
s_mul_i32 s36, 0xaaaa, s38                         // tmp1 = dividend * magic hi
s_lshl_b64 s[36:37], s[36:37], 0x10                // left shift 16 bits
s_mul_i32 s[sgprWorkGroup1], s38, 0xaaab           // tmp0 = dividend * magic lo
s_add_u32 s36, s[sgprWorkGroup1], s36              // add lo
s_addc_u32 s37, s37, 0x0                           // add hi
s_lshr_b64 s[36:37], s[36:37], 0x21                // tmp1 = (dividend * magic) << shift
s_mov_b32 s[sgprWorkGroup1], s36                   // quotient
s_mul_i32 s36, s[sgprWorkGroup1], 0x3              // quotient*divisor
s_sub_u32 s[sgprGSUSumIdx], s38, s36               // rReg = dividend - quotient*divisor


/* global read addresses: unroll assignment a */

/* v1 */


/* global read addresses: unroll assignment b */

/* v4 */


/* global read addresses: other free assignments */

/* s[sgprWorkGroup2] */


/* global read addresses: tile offsets a */


	;; [unrolled: 1-line block ×3, first 2 shown]
/* global read addresses: tile offsets b */


	;; [unrolled: 1-line block ×3, first 2 shown]
/* global read addresses: unroll offsets a */


	;; [unrolled: 1-line block ×3, first 2 shown]
/* global read addresses: unroll offsets b */


	;; [unrolled: 1-line block ×3, first 2 shown]
/* global read addresses: final offsets a */

GLOBAL_OFFSET_A vgprGlobalReadOffsetA+0,  0,  1, 6 // gROA_0_0_0_0
s_mul_i32 s[sgprScalarGlobalReadOffsetA+0], s[sgprStrideAL], 0 // compute offset diff (scaled unrollDim)
s_add_u32 s[sgprScalarGlobalReadOffsetA+0], s[sgprScalarGlobalReadOffsetA+0], 128 // compute offset diff (tileDim)
s_lshl_b32 s[sgprScalarGlobalReadOffsetA+0], s[sgprScalarGlobalReadOffsetA+0], 0x1 // scalar offset *= bytes/element
s_mul_i32 s[sgprScalarGlobalReadOffsetA+1], s[sgprStrideAL], 1 // compute offset diff (scaled unrollDim)
s_lshl_b32 s[sgprScalarGlobalReadOffsetA+1], s[sgprScalarGlobalReadOffsetA+1], 0x1 // scalar offset *= bytes/element
s_mul_i32 s[sgprScalarGlobalReadOffsetA+2], s[sgprStrideAL], 1 // compute offset diff (scaled unrollDim)
s_add_u32 s[sgprScalarGlobalReadOffsetA+2], s[sgprScalarGlobalReadOffsetA+2], 128 // compute offset diff (tileDim)
s_lshl_b32 s[sgprScalarGlobalReadOffsetA+2], s[sgprScalarGlobalReadOffsetA+2], 0x1 // scalar offset *= bytes/element
s_mul_i32 s[sgprScalarGlobalReadOffsetA+3], s[sgprStrideAL], 2 // compute offset diff (scaled unrollDim)
s_lshl_b32 s[sgprScalarGlobalReadOffsetA+3], s[sgprScalarGlobalReadOffsetA+3], 0x1 // scalar offset *= bytes/element
	;; [unrolled: 5-line block ×7, first 2 shown]
s_mul_i32 s[sgprScalarGlobalReadOffsetA+14], s[sgprStrideAL], 7 // compute offset diff (scaled unrollDim)
s_add_u32 s[sgprScalarGlobalReadOffsetA+14], s[sgprScalarGlobalReadOffsetA+14], 128 // compute offset diff (tileDim)
s_lshl_b32 s[sgprScalarGlobalReadOffsetA+14], s[sgprScalarGlobalReadOffsetA+14], 0x1 // scalar offset *= bytes/element


/* global read addresses: final offsets b */

GLOBAL_OFFSET_B vgprGlobalReadOffsetB+0,  4,  3, 6 // gROB_0_0_0_0
s_mul_i32 s[sgprScalarGlobalReadOffsetB+0], s[sgprStrideB1J], 4 // compute offset diff (scaled tileDim)
s_lshl_b32 s[sgprScalarGlobalReadOffsetB+0], s[sgprScalarGlobalReadOffsetB+0], 0x1 // scalar offset *= bytes/element
s_mul_i32 s[sgprScalarGlobalReadOffsetB+1], s[sgprStrideB1J], 8 // compute offset diff (scaled tileDim)
s_lshl_b32 s[sgprScalarGlobalReadOffsetB+1], s[sgprScalarGlobalReadOffsetB+1], 0x1 // scalar offset *= bytes/element
	;; [unrolled: 2-line block ×15, first 2 shown]


/* global read addresses: addresses a */

/* max read offset = size[n] * stride[n-1] */
s_mul_hi_u32 s39, s[sgprWorkGroup0], 256           // WorkGroup[01] * MT
s_mul_i32 s38, s[sgprWorkGroup0], 256              // WorkGroup[01] * MT
s_mul_hi_u32 s37, 32, s[sgprGSUSumIdx]             // gsuOffset = DepthU*bpe*GSUSumIdx
s_mul_i32 s36, 32, s[sgprGSUSumIdx]                // gsuOffset = DepthU*bpe*GSUSumIdx
s_mul_hi_u32 s37, s36, s[sgprStrideAL]             // tlu=1, scaled unroll-offset by stride
s_mul_i32 s36, s36, s[sgprStrideAL]                // tlu=1, scaled unroll-offset by stride
s_add_u32 s38, s38, s36                            // accum GsuOffset term to tilestart
s_addc_u32 s39, s39, s37                           // accum GsuOffset term to tilestart
s_sub_u32 s[sgprShadowLimitA+0], s[sgprTensor2dSizeA], s38 // sub tileStart
s_subb_u32 s[sgprShadowLimitA+1], s[sgprTensor2dSizeA+1], s39 // sub tileStart
s_lshl_b64 s[sgprShadowLimitA:sgprShadowLimitA+1], s[sgprShadowLimitA:sgprShadowLimitA+1], 0x1 // Set limit to use bytes
s_add_u32 s[sgprShadowLimitA+0], s[sgprShadowLimitA+0], 4 // extend limit for pre-pad
s_addc_u32 s[sgprShadowLimitA+1], s[sgprShadowLimitA+1], 0 // extend limit for pre-pad
s_cmp_eq_u32 s[sgprShadowLimitA+1], 0              // are we within 2^32?
s_cselect_b32 s[sgprSrdA+2], s[sgprShadowLimitA+0], BufferLimitA // Move shadow to real if we are within 2^32
s_mul_hi_u32 s37, s[sgprStrideAK], s[sgprWorkGroup2] // Stride*WG
s_mul_i32 s36, s[sgprStrideAK], s[sgprWorkGroup2]  // Stride*WG
s_add_u32 s38, s38, s36                            // accum wg term to tilestart
s_addc_u32 s39, s39, s37                           // accum wg term to tilestart
s_lshl_b64 s[38:39], s[38:39], 0x1                 // tileStart *= BPE
s_add_u32 s[sgprSrdA+0], s[sgprSrdA+0], s38        // SRD base = Address+ tileStart0
s_addc_u32 s[sgprSrdA+1], s[sgprSrdA+1], s39       // SRD base = Address+ tileStart1
s_mov_b32 s[sgprSrdA+3], Srd127_96                 // Set bits 127_96 in SRD


/* global read addresses: addresses b */

/* max read offset = size[n] * stride[n-1] */
s_mul_hi_u32 s39, s[sgprWorkGroup1], 256           // WorkGroup[01] * MT
s_mul_i32 s38, s[sgprWorkGroup1], 256              // WorkGroup[01] * MT
s_mul_hi_u32 s39, s38, s[sgprStrideB1J]            // tlu=0, scaled tile-offset by stride
s_mul_i32 s38, s38, s[sgprStrideB1J]               // tlu=0, scaled tile-offset by stride
s_mul_hi_u32 s37, 32, s[sgprGSUSumIdx]             // gsuOffset = DepthU*bpe*GSUSumIdx
s_mul_i32 s36, 32, s[sgprGSUSumIdx]                // gsuOffset = DepthU*bpe*GSUSumIdx
s_add_u32 s38, s38, s36                            // accum GsuOffset term to tilestart
s_addc_u32 s39, s39, s37                           // accum GsuOffset term to tilestart
s_sub_u32 s[sgprShadowLimitB+0], s[sgprTensor2dSizeB], s38 // sub tileStart
s_subb_u32 s[sgprShadowLimitB+1], s[sgprTensor2dSizeB+1], s39 // sub tileStart
s_lshl_b64 s[sgprShadowLimitB:sgprShadowLimitB+1], s[sgprShadowLimitB:sgprShadowLimitB+1], 0x1 // Set limit to use bytes
s_add_u32 s[sgprShadowLimitB+0], s[sgprShadowLimitB+0], 4 // extend limit for pre-pad
s_addc_u32 s[sgprShadowLimitB+1], s[sgprShadowLimitB+1], 0 // extend limit for pre-pad
s_cmp_eq_u32 s[sgprShadowLimitB+1], 0              // are we within 2^32?
s_cselect_b32 s[sgprSrdB+2], s[sgprShadowLimitB+0], BufferLimitB // Move shadow to real if we are within 2^32
s_mul_hi_u32 s37, s[sgprStrideBK], s[sgprWorkGroup2] // Stride*WG
s_mul_i32 s36, s[sgprStrideBK], s[sgprWorkGroup2]  // Stride*WG
s_add_u32 s38, s38, s36                            // accum wg term to tilestart
s_addc_u32 s39, s39, s37                           // accum wg term to tilestart
s_lshl_b64 s[38:39], s[38:39], 0x1                 // tileStart *= BPE
s_add_u32 s[sgprSrdB+0], s[sgprSrdB+0], s38        // SRD base = Address+ tileStart0
s_addc_u32 s[sgprSrdB+1], s[sgprSrdB+1], s39       // SRD base = Address+ tileStart1
s_mov_b32 s[sgprSrdB+3], Srd127_96                 // Set bits 127_96 in SRD


/* global read addresses: increments a */

s_mul_i32 s[sgprGlobalReadIncsA+0], DepthU*BpeA*3, s[sgprStrideAL] // incrA unrollIdx)


/* global read addresses: increments b */

s_mov_b32 s[sgprGlobalReadIncsB+0], DepthU*BpeB*3  // incrB (unrollIdx)

/* declare loop num iterations */


s_lshr_b32 s[sgprLoopCounterL], s[sgprSizesSum+0], 5 // s[sgprLoopCounterL] = s[sgprSizesSum+0] / 32
v_mov_b32 v2, s[sgprLoopCounterL]                  // copy for divide IterGsu
s_mov_b32 s36, 0xaaaaaaab                          // v0 = v2 / 3
v_mul_hi_u32 v0, v2, s36                           // v0 = v2 / 3
v_lshrrev_b32 v0, 0x1, v0                          // v0 = v2 / 3
s_mov_b32 s36, 0x3                                 // v1 = v2 % 3
v_mul_lo_u32 v1, v0, s36                           // v1 = v2 % 3
_v_sub_u32 v1, v2, v1                              // v1 = v2 % 3
v_readfirstlane_b32 s[sgprLoopCounterL], v0        // 
v_readfirstlane_b32 s[sgprGSUSumIdx+1], v1         // 
s_add_u32 s36, 1, s[sgprLoopCounterL]              // tmp<-numIterMyWg+
s_cmp_lt_u32 s[sgprGSUSumIdx], s[sgprGSUSumIdx+1]  // gsuSumIdx < numIterPerWgRemainder
s_cmov_b32 s[sgprLoopCounterL], s36                // numIterMyWg++ if needed
s_mov_b32 s[sgprOrigLoopCounter], s[sgprLoopCounterL] // copy loop counter

/* local read addresses: init pointers a */


/* localReadInitPointers */

/* local read addresses: init pointers b */


/* localReadInitPointers */


/* prefetch: global -> local */

s_cmp_eq_u32 s[sgprLoopCounterL], 0                // at last iteration?
s_cbranch_scc1 ShadowInitStart_10                  // skip to ShadowInitStart iter b/c numIter==0


_buffer_load_b32 v[vgprG2LA+0], v[vgprGlobalReadOffsetA+0], s[sgprSrdA:sgprSrdA+3], 0, offen offset:0 // G -> Reg 0_0_0_0
_buffer_load_b32 v[vgprG2LA+1], v[vgprGlobalReadOffsetA+0], s[sgprSrdA:sgprSrdA+3], s[sgprScalarGlobalReadOffsetA+0], offen offset:0 // G -> Reg 1_0_0_0
_buffer_load_b32 v[vgprG2LA+2], v[vgprGlobalReadOffsetA+0], s[sgprSrdA:sgprSrdA+3], s[sgprScalarGlobalReadOffsetA+1], offen offset:0 // G -> Reg 0_0_1_0
_buffer_load_b32 v[vgprG2LA+3], v[vgprGlobalReadOffsetA+0], s[sgprSrdA:sgprSrdA+3], s[sgprScalarGlobalReadOffsetA+2], offen offset:0 // G -> Reg 1_0_1_0
_buffer_load_b32 v[vgprG2LA+4], v[vgprGlobalReadOffsetA+0], s[sgprSrdA:sgprSrdA+3], s[sgprScalarGlobalReadOffsetA+3], offen offset:0 // G -> Reg 0_0_2_0
_buffer_load_b32 v[vgprG2LA+5], v[vgprGlobalReadOffsetA+0], s[sgprSrdA:sgprSrdA+3], s[sgprScalarGlobalReadOffsetA+4], offen offset:0 // G -> Reg 1_0_2_0
_buffer_load_b32 v[vgprG2LA+6], v[vgprGlobalReadOffsetA+0], s[sgprSrdA:sgprSrdA+3], s[sgprScalarGlobalReadOffsetA+5], offen offset:0 // G -> Reg 0_0_3_0
_buffer_load_b32 v[vgprG2LA+7], v[vgprGlobalReadOffsetA+0], s[sgprSrdA:sgprSrdA+3], s[sgprScalarGlobalReadOffsetA+6], offen offset:0 // G -> Reg 1_0_3_0
_buffer_load_b32 v[vgprG2LA+8], v[vgprGlobalReadOffsetA+0], s[sgprSrdA:sgprSrdA+3], s[sgprScalarGlobalReadOffsetA+7], offen offset:0 // G -> Reg 0_0_4_0
_buffer_load_b32 v[vgprG2LA+9], v[vgprGlobalReadOffsetA+0], s[sgprSrdA:sgprSrdA+3], s[sgprScalarGlobalReadOffsetA+8], offen offset:0 // G -> Reg 1_0_4_0
_buffer_load_b32 v[vgprG2LA+10], v[vgprGlobalReadOffsetA+0], s[sgprSrdA:sgprSrdA+3], s[sgprScalarGlobalReadOffsetA+9], offen offset:0 // G -> Reg 0_0_5_0
_buffer_load_b32 v[vgprG2LA+11], v[vgprGlobalReadOffsetA+0], s[sgprSrdA:sgprSrdA+3], s[sgprScalarGlobalReadOffsetA+10], offen offset:0 // G -> Reg 1_0_5_0
_buffer_load_b32 v[vgprG2LA+12], v[vgprGlobalReadOffsetA+0], s[sgprSrdA:sgprSrdA+3], s[sgprScalarGlobalReadOffsetA+11], offen offset:0 // G -> Reg 0_0_6_0
_buffer_load_b32 v[vgprG2LA+13], v[vgprGlobalReadOffsetA+0], s[sgprSrdA:sgprSrdA+3], s[sgprScalarGlobalReadOffsetA+12], offen offset:0 // G -> Reg 1_0_6_0
_buffer_load_b32 v[vgprG2LA+14], v[vgprGlobalReadOffsetA+0], s[sgprSrdA:sgprSrdA+3], s[sgprScalarGlobalReadOffsetA+13], offen offset:0 // G -> Reg 0_0_7_0
_buffer_load_b32 v[vgprG2LA+15], v[vgprGlobalReadOffsetA+0], s[sgprSrdA:sgprSrdA+3], s[sgprScalarGlobalReadOffsetA+14], offen offset:0 // G -> Reg 1_0_7_0


_buffer_load_b32 v[vgprG2LB+0], v[vgprGlobalReadOffsetB+0], s[sgprSrdB:sgprSrdB+3], 0, offen offset:0 // G -> Reg 0_0_0_0
_buffer_load_b32 v[vgprG2LB+1], v[vgprGlobalReadOffsetB+0], s[sgprSrdB:sgprSrdB+3], s[sgprScalarGlobalReadOffsetB+0], offen offset:0 // G -> Reg 0_0_1_0
_buffer_load_b32 v[vgprG2LB+2], v[vgprGlobalReadOffsetB+0], s[sgprSrdB:sgprSrdB+3], s[sgprScalarGlobalReadOffsetB+1], offen offset:0 // G -> Reg 0_0_2_0
_buffer_load_b32 v[vgprG2LB+3], v[vgprGlobalReadOffsetB+0], s[sgprSrdB:sgprSrdB+3], s[sgprScalarGlobalReadOffsetB+2], offen offset:0 // G -> Reg 0_0_3_0
_buffer_load_b32 v[vgprG2LB+4], v[vgprGlobalReadOffsetB+0], s[sgprSrdB:sgprSrdB+3], s[sgprScalarGlobalReadOffsetB+3], offen offset:0 // G -> Reg 0_0_4_0
_buffer_load_b32 v[vgprG2LB+5], v[vgprGlobalReadOffsetB+0], s[sgprSrdB:sgprSrdB+3], s[sgprScalarGlobalReadOffsetB+4], offen offset:0 // G -> Reg 0_0_5_0
_buffer_load_b32 v[vgprG2LB+6], v[vgprGlobalReadOffsetB+0], s[sgprSrdB:sgprSrdB+3], s[sgprScalarGlobalReadOffsetB+5], offen offset:0 // G -> Reg 0_0_6_0
_buffer_load_b32 v[vgprG2LB+7], v[vgprGlobalReadOffsetB+0], s[sgprSrdB:sgprSrdB+3], s[sgprScalarGlobalReadOffsetB+6], offen offset:0 // G -> Reg 0_0_7_0
_buffer_load_b32 v[vgprG2LB+8], v[vgprGlobalReadOffsetB+0], s[sgprSrdB:sgprSrdB+3], s[sgprScalarGlobalReadOffsetB+7], offen offset:0 // G -> Reg 0_0_8_0
_buffer_load_b32 v[vgprG2LB+9], v[vgprGlobalReadOffsetB+0], s[sgprSrdB:sgprSrdB+3], s[sgprScalarGlobalReadOffsetB+8], offen offset:0 // G -> Reg 0_0_9_0
_buffer_load_b32 v[vgprG2LB+10], v[vgprGlobalReadOffsetB+0], s[sgprSrdB:sgprSrdB+3], s[sgprScalarGlobalReadOffsetB+9], offen offset:0 // G -> Reg 0_0_10_0
_buffer_load_b32 v[vgprG2LB+11], v[vgprGlobalReadOffsetB+0], s[sgprSrdB:sgprSrdB+3], s[sgprScalarGlobalReadOffsetB+10], offen offset:0 // G -> Reg 0_0_11_0
_buffer_load_b32 v[vgprG2LB+12], v[vgprGlobalReadOffsetB+0], s[sgprSrdB:sgprSrdB+3], s[sgprScalarGlobalReadOffsetB+11], offen offset:0 // G -> Reg 0_0_12_0
_buffer_load_b32 v[vgprG2LB+13], v[vgprGlobalReadOffsetB+0], s[sgprSrdB:sgprSrdB+3], s[sgprScalarGlobalReadOffsetB+12], offen offset:0 // G -> Reg 0_0_13_0
_buffer_load_b32 v[vgprG2LB+14], v[vgprGlobalReadOffsetB+0], s[sgprSrdB:sgprSrdB+3], s[sgprScalarGlobalReadOffsetB+13], offen offset:0 // G -> Reg 0_0_14_0
_buffer_load_b32 v[vgprG2LB+15], v[vgprGlobalReadOffsetB+0], s[sgprSrdB:sgprSrdB+3], s[sgprScalarGlobalReadOffsetB+14], offen offset:0 // G -> Reg 0_0_15_0


/* global read inc A loopL */
s_add_u32 s[sgprSrdA+0], s[sgprSrdA+0], s[sgprGlobalReadIncsA+0] // gra SRD += inc(lower)
s_addc_u32  s[sgprSrdA+1], s[sgprSrdA+1], 0        // gra SRD += inc(upper)
s_sub_u32 s[sgprShadowLimitA+0], s[sgprShadowLimitA+0], s[sgprGlobalReadIncsA+0] // limit -= inc)
s_subb_u32 s[sgprShadowLimitA+1], s[sgprShadowLimitA+1], 0 // limit -= inc)
s_cmp_eq_u32 s[sgprShadowLimitA+1], 0              // are we within 2^32?
s_cmov_b32 s[sgprSrdA+2], s[sgprShadowLimitA+0]    // Move shadow to real if we are within 2^32

/* global read inc B loopL */
s_add_u32 s[sgprSrdB+0], s[sgprSrdB+0], s[sgprGlobalReadIncsB+0] // gra SRD += inc(lower)
s_addc_u32  s[sgprSrdB+1], s[sgprSrdB+1], 0        // gra SRD += inc(upper)
s_sub_u32 s[sgprShadowLimitB+0], s[sgprShadowLimitB+0], s[sgprGlobalReadIncsB+0] // limit -= inc)
s_subb_u32 s[sgprShadowLimitB+1], s[sgprShadowLimitB+1], 0 // limit -= inc)
s_cmp_eq_u32 s[sgprShadowLimitB+1], 0              // are we within 2^32?
s_cmov_b32 s[sgprSrdB+2], s[sgprShadowLimitB+0]    // Move shadow to real if we are within 2^32


/******************************************/
/* End setupNewTile, isPap=False             */
/******************************************/

ShadowInitStart_10: // 

s_mov_b32 s[sgprSrdD+2], BufferOOB                 // 
s_mov_b32 s[sgprSrdD+3], Srd127_96                 // Set bits 127_96 in post-loop SRD

s_mov_b32 s[sgprSrdC+2], BufferOOB                 // 
s_mov_b32 s[sgprSrdC+3], Srd127_96                 // Set bits 127_96 in post-loop SRD


s_mul_i32 s38, MT1, s[sgprWorkGroup1]              // <- wg1*MT1
s_mul_hi_u32 s37, s38, s[sgprStrideC1J]            // CScale s38 by Stride
s_mul_i32 s36, s38, s[sgprStrideC1J]               // CScale s38 by Stride
s_lshl_b64 s[36:37], s[36:37], 2                   // scale by bpe
s_add_u32 s[sgprSrdC+0], s[sgprSrdC+0], s36        // add lo to SRD
s_addc_u32 s[sgprSrdC+1], s[sgprSrdC+1], s37       // add hi to SRD
s_mul_hi_u32 s37, s38, s[sgprStrideD1J]            // Scale s38 by Stride
s_mul_i32 s36, s38, s[sgprStrideD1J]               // Scale s38 by Stride
s_lshl_b64 s[36:37], s[36:37], 2                   // scale by bpe
s_add_u32 s[sgprSrdD+0], s[sgprSrdD+0], s36        // add lo to SRD
s_addc_u32 s[sgprSrdD+1], s[sgprSrdD+1], s37       // add hi to SRD

s_mul_hi_u32 s37, s[sgprWorkGroup2], s[sgprStrideCK] // CScale s[sgprWorkGroup2] by Stride
s_mul_i32 s36, s[sgprWorkGroup2], s[sgprStrideCK]  // CScale s[sgprWorkGroup2] by Stride
s_lshl_b64 s[36:37], s[36:37], 2                   // scale by bpe
s_add_u32 s[sgprSrdC+0], s[sgprSrdC+0], s36        // add lo to SRD
s_addc_u32 s[sgprSrdC+1], s[sgprSrdC+1], s37       // add hi to SRD
s_mul_hi_u32 s37, s[sgprWorkGroup2], s[sgprStrideDK] // Scale s[sgprWorkGroup2] by Stride
s_mul_i32 s36, s[sgprWorkGroup2], s[sgprStrideDK]  // Scale s[sgprWorkGroup2] by Stride
s_lshl_b64 s[36:37], s[36:37], 2                   // scale by bpe
s_add_u32 s[sgprSrdD+0], s[sgprSrdD+0], s36        // add lo to SRD
s_addc_u32 s[sgprSrdD+1], s[sgprSrdD+1], s37       // add hi to SRD

// GSU Output Buffer offset: Free0 + (Free1-1)*StrideC1J + (Free2-1)*StrideCK * GSUIdx * bpe
s_mul_hi_u32 s11, s[sgprSizesFree+0], s[sgprGSUSumIdx] // Free0
s_mul_i32 s10, s[sgprSizesFree+0], s[sgprGSUSumIdx] // Free0
s_sub_u32 s35, s[sgprSizesFree+1], 1               // Free1
s_mul_i32 s35, s35, s[sgprGSUSumIdx]               // Free1
s_mul_hi_u32 s87, s35, s[sgprStrideC1J]            // Free1
s_mul_i32 s86, s35, s[sgprStrideC1J]               // Free1
s_add_u32 s10, s10, s86                            // Free1
s_addc_u32 s11, s11, s87                           // Free1
s_sub_u32 s35, s[sgprSizesFree+2], 1               // Free2
s_mul_i32 s35, s35, s[sgprGSUSumIdx]               // Free2
s_mul_hi_u32 s87, s35, s[sgprStrideCK]             // Free2
s_mul_i32 s86, s35, s[sgprStrideCK]                // Free2
s_add_u32 s10, s10, s86                            // Free2
s_addc_u32 s11, s11, s87                           // Free2
s_lshl_b64 s[10:11], s[10:11], 2                   // scale by bpe
s_add_u32 s[sgprSrdD+0], s[sgprSrdD+0], s10        // add lo GSU offset to SRD
s_addc_u32 s[sgprSrdD+1], s[sgprSrdD+1], s11       // add hi GSU offset to SRD


/* initC: remove C-tile 0-0 from pool */

/* initC: remove AB-tile 0-64 from pool */
v_accvgpr_write acc0, 0x0                          // initC
v_accvgpr_write acc1, 0x0                          // initC
v_accvgpr_write acc2, 0x0                          // initC
v_accvgpr_write acc3, 0x0                          // initC
v_accvgpr_write acc4, 0x0                          // initC
v_accvgpr_write acc5, 0x0                          // initC
v_accvgpr_write acc6, 0x0                          // initC
v_accvgpr_write acc7, 0x0                          // initC
v_accvgpr_write acc8, 0x0                          // initC
v_accvgpr_write acc9, 0x0                          // initC
v_accvgpr_write acc10, 0x0                         // initC
v_accvgpr_write acc11, 0x0                         // initC
v_accvgpr_write acc12, 0x0                         // initC
v_accvgpr_write acc13, 0x0                         // initC
v_accvgpr_write acc14, 0x0                         // initC
v_accvgpr_write acc15, 0x0                         // initC
v_accvgpr_write acc16, 0x0                         // initC
v_accvgpr_write acc17, 0x0                         // initC
v_accvgpr_write acc18, 0x0                         // initC
v_accvgpr_write acc19, 0x0                         // initC
v_accvgpr_write acc20, 0x0                         // initC
v_accvgpr_write acc21, 0x0                         // initC
v_accvgpr_write acc22, 0x0                         // initC
v_accvgpr_write acc23, 0x0                         // initC
v_accvgpr_write acc24, 0x0                         // initC
v_accvgpr_write acc25, 0x0                         // initC
v_accvgpr_write acc26, 0x0                         // initC
v_accvgpr_write acc27, 0x0                         // initC
v_accvgpr_write acc28, 0x0                         // initC
v_accvgpr_write acc29, 0x0                         // initC
v_accvgpr_write acc30, 0x0                         // initC
v_accvgpr_write acc31, 0x0                         // initC
v_accvgpr_write acc32, 0x0                         // initC
v_accvgpr_write acc33, 0x0                         // initC
v_accvgpr_write acc34, 0x0                         // initC
v_accvgpr_write acc35, 0x0                         // initC
v_accvgpr_write acc36, 0x0                         // initC
v_accvgpr_write acc37, 0x0                         // initC
v_accvgpr_write acc38, 0x0                         // initC
v_accvgpr_write acc39, 0x0                         // initC
v_accvgpr_write acc40, 0x0                         // initC
v_accvgpr_write acc41, 0x0                         // initC
v_accvgpr_write acc42, 0x0                         // initC
v_accvgpr_write acc43, 0x0                         // initC
v_accvgpr_write acc44, 0x0                         // initC
v_accvgpr_write acc45, 0x0                         // initC
v_accvgpr_write acc46, 0x0                         // initC
v_accvgpr_write acc47, 0x0                         // initC
v_accvgpr_write acc48, 0x0                         // initC
v_accvgpr_write acc49, 0x0                         // initC
v_accvgpr_write acc50, 0x0                         // initC
v_accvgpr_write acc51, 0x0                         // initC
v_accvgpr_write acc52, 0x0                         // initC
v_accvgpr_write acc53, 0x0                         // initC
v_accvgpr_write acc54, 0x0                         // initC
v_accvgpr_write acc55, 0x0                         // initC
v_accvgpr_write acc56, 0x0                         // initC
v_accvgpr_write acc57, 0x0                         // initC
v_accvgpr_write acc58, 0x0                         // initC
v_accvgpr_write acc59, 0x0                         // initC
v_accvgpr_write acc60, 0x0                         // initC
v_accvgpr_write acc61, 0x0                         // initC
v_accvgpr_write acc62, 0x0                         // initC
v_accvgpr_write acc63, 0x0                         // initC
v_accvgpr_write acc64, 0x0                         // initC
v_accvgpr_write acc65, 0x0                         // initC
v_accvgpr_write acc66, 0x0                         // initC
v_accvgpr_write acc67, 0x0                         // initC
v_accvgpr_write acc68, 0x0                         // initC
v_accvgpr_write acc69, 0x0                         // initC
v_accvgpr_write acc70, 0x0                         // initC
v_accvgpr_write acc71, 0x0                         // initC
v_accvgpr_write acc72, 0x0                         // initC
v_accvgpr_write acc73, 0x0                         // initC
v_accvgpr_write acc74, 0x0                         // initC
v_accvgpr_write acc75, 0x0                         // initC
v_accvgpr_write acc76, 0x0                         // initC
v_accvgpr_write acc77, 0x0                         // initC
v_accvgpr_write acc78, 0x0                         // initC
v_accvgpr_write acc79, 0x0                         // initC
v_accvgpr_write acc80, 0x0                         // initC
v_accvgpr_write acc81, 0x0                         // initC
v_accvgpr_write acc82, 0x0                         // initC
v_accvgpr_write acc83, 0x0                         // initC
v_accvgpr_write acc84, 0x0                         // initC
v_accvgpr_write acc85, 0x0                         // initC
v_accvgpr_write acc86, 0x0                         // initC
v_accvgpr_write acc87, 0x0                         // initC
v_accvgpr_write acc88, 0x0                         // initC
v_accvgpr_write acc89, 0x0                         // initC
v_accvgpr_write acc90, 0x0                         // initC
v_accvgpr_write acc91, 0x0                         // initC
v_accvgpr_write acc92, 0x0                         // initC
v_accvgpr_write acc93, 0x0                         // initC
v_accvgpr_write acc94, 0x0                         // initC
v_accvgpr_write acc95, 0x0                         // initC
v_accvgpr_write acc96, 0x0                         // initC
v_accvgpr_write acc97, 0x0                         // initC
v_accvgpr_write acc98, 0x0                         // initC
v_accvgpr_write acc99, 0x0                         // initC
v_accvgpr_write acc100, 0x0                        // initC
v_accvgpr_write acc101, 0x0                        // initC
v_accvgpr_write acc102, 0x0                        // initC
v_accvgpr_write acc103, 0x0                        // initC
v_accvgpr_write acc104, 0x0                        // initC
v_accvgpr_write acc105, 0x0                        // initC
v_accvgpr_write acc106, 0x0                        // initC
v_accvgpr_write acc107, 0x0                        // initC
v_accvgpr_write acc108, 0x0                        // initC
v_accvgpr_write acc109, 0x0                        // initC
v_accvgpr_write acc110, 0x0                        // initC
v_accvgpr_write acc111, 0x0                        // initC
v_accvgpr_write acc112, 0x0                        // initC
v_accvgpr_write acc113, 0x0                        // initC
v_accvgpr_write acc114, 0x0                        // initC
v_accvgpr_write acc115, 0x0                        // initC
v_accvgpr_write acc116, 0x0                        // initC
v_accvgpr_write acc117, 0x0                        // initC
v_accvgpr_write acc118, 0x0                        // initC
v_accvgpr_write acc119, 0x0                        // initC
v_accvgpr_write acc120, 0x0                        // initC
v_accvgpr_write acc121, 0x0                        // initC
v_accvgpr_write acc122, 0x0                        // initC
v_accvgpr_write acc123, 0x0                        // initC
v_accvgpr_write acc124, 0x0                        // initC
v_accvgpr_write acc125, 0x0                        // initC
v_accvgpr_write acc126, 0x0                        // initC
v_accvgpr_write acc127, 0x0                        // initC
v_accvgpr_write acc128, 0x0                        // initC
v_accvgpr_write acc129, 0x0                        // initC
v_accvgpr_write acc130, 0x0                        // initC
v_accvgpr_write acc131, 0x0                        // initC
v_accvgpr_write acc132, 0x0                        // initC
v_accvgpr_write acc133, 0x0                        // initC
v_accvgpr_write acc134, 0x0                        // initC
v_accvgpr_write acc135, 0x0                        // initC
v_accvgpr_write acc136, 0x0                        // initC
v_accvgpr_write acc137, 0x0                        // initC
v_accvgpr_write acc138, 0x0                        // initC
v_accvgpr_write acc139, 0x0                        // initC
v_accvgpr_write acc140, 0x0                        // initC
v_accvgpr_write acc141, 0x0                        // initC
v_accvgpr_write acc142, 0x0                        // initC
v_accvgpr_write acc143, 0x0                        // initC
v_accvgpr_write acc144, 0x0                        // initC
v_accvgpr_write acc145, 0x0                        // initC
v_accvgpr_write acc146, 0x0                        // initC
v_accvgpr_write acc147, 0x0                        // initC
v_accvgpr_write acc148, 0x0                        // initC
v_accvgpr_write acc149, 0x0                        // initC
v_accvgpr_write acc150, 0x0                        // initC
v_accvgpr_write acc151, 0x0                        // initC
v_accvgpr_write acc152, 0x0                        // initC
v_accvgpr_write acc153, 0x0                        // initC
v_accvgpr_write acc154, 0x0                        // initC
v_accvgpr_write acc155, 0x0                        // initC
v_accvgpr_write acc156, 0x0                        // initC
v_accvgpr_write acc157, 0x0                        // initC
v_accvgpr_write acc158, 0x0                        // initC
v_accvgpr_write acc159, 0x0                        // initC
v_accvgpr_write acc160, 0x0                        // initC
v_accvgpr_write acc161, 0x0                        // initC
v_accvgpr_write acc162, 0x0                        // initC
v_accvgpr_write acc163, 0x0                        // initC
v_accvgpr_write acc164, 0x0                        // initC
v_accvgpr_write acc165, 0x0                        // initC
v_accvgpr_write acc166, 0x0                        // initC
v_accvgpr_write acc167, 0x0                        // initC
v_accvgpr_write acc168, 0x0                        // initC
v_accvgpr_write acc169, 0x0                        // initC
v_accvgpr_write acc170, 0x0                        // initC
v_accvgpr_write acc171, 0x0                        // initC
v_accvgpr_write acc172, 0x0                        // initC
v_accvgpr_write acc173, 0x0                        // initC
v_accvgpr_write acc174, 0x0                        // initC
v_accvgpr_write acc175, 0x0                        // initC
v_accvgpr_write acc176, 0x0                        // initC
v_accvgpr_write acc177, 0x0                        // initC
v_accvgpr_write acc178, 0x0                        // initC
v_accvgpr_write acc179, 0x0                        // initC
v_accvgpr_write acc180, 0x0                        // initC
v_accvgpr_write acc181, 0x0                        // initC
v_accvgpr_write acc182, 0x0                        // initC
v_accvgpr_write acc183, 0x0                        // initC
v_accvgpr_write acc184, 0x0                        // initC
v_accvgpr_write acc185, 0x0                        // initC
v_accvgpr_write acc186, 0x0                        // initC
v_accvgpr_write acc187, 0x0                        // initC
v_accvgpr_write acc188, 0x0                        // initC
v_accvgpr_write acc189, 0x0                        // initC
v_accvgpr_write acc190, 0x0                        // initC
v_accvgpr_write acc191, 0x0                        // initC
v_accvgpr_write acc192, 0x0                        // initC
v_accvgpr_write acc193, 0x0                        // initC
v_accvgpr_write acc194, 0x0                        // initC
v_accvgpr_write acc195, 0x0                        // initC
v_accvgpr_write acc196, 0x0                        // initC
v_accvgpr_write acc197, 0x0                        // initC
v_accvgpr_write acc198, 0x0                        // initC
v_accvgpr_write acc199, 0x0                        // initC
v_accvgpr_write acc200, 0x0                        // initC
v_accvgpr_write acc201, 0x0                        // initC
v_accvgpr_write acc202, 0x0                        // initC
v_accvgpr_write acc203, 0x0                        // initC
v_accvgpr_write acc204, 0x0                        // initC
v_accvgpr_write acc205, 0x0                        // initC
v_accvgpr_write acc206, 0x0                        // initC
v_accvgpr_write acc207, 0x0                        // initC
v_accvgpr_write acc208, 0x0                        // initC
v_accvgpr_write acc209, 0x0                        // initC
v_accvgpr_write acc210, 0x0                        // initC
v_accvgpr_write acc211, 0x0                        // initC
v_accvgpr_write acc212, 0x0                        // initC
v_accvgpr_write acc213, 0x0                        // initC
v_accvgpr_write acc214, 0x0                        // initC
v_accvgpr_write acc215, 0x0                        // initC
v_accvgpr_write acc216, 0x0                        // initC
v_accvgpr_write acc217, 0x0                        // initC
v_accvgpr_write acc218, 0x0                        // initC
v_accvgpr_write acc219, 0x0                        // initC
v_accvgpr_write acc220, 0x0                        // initC
v_accvgpr_write acc221, 0x0                        // initC
v_accvgpr_write acc222, 0x0                        // initC
v_accvgpr_write acc223, 0x0                        // initC
v_accvgpr_write acc224, 0x0                        // initC
v_accvgpr_write acc225, 0x0                        // initC
v_accvgpr_write acc226, 0x0                        // initC
v_accvgpr_write acc227, 0x0                        // initC
v_accvgpr_write acc228, 0x0                        // initC
v_accvgpr_write acc229, 0x0                        // initC
v_accvgpr_write acc230, 0x0                        // initC
v_accvgpr_write acc231, 0x0                        // initC
v_accvgpr_write acc232, 0x0                        // initC
v_accvgpr_write acc233, 0x0                        // initC
v_accvgpr_write acc234, 0x0                        // initC
v_accvgpr_write acc235, 0x0                        // initC
v_accvgpr_write acc236, 0x0                        // initC
v_accvgpr_write acc237, 0x0                        // initC
v_accvgpr_write acc238, 0x0                        // initC
v_accvgpr_write acc239, 0x0                        // initC
v_accvgpr_write acc240, 0x0                        // initC
v_accvgpr_write acc241, 0x0                        // initC
v_accvgpr_write acc242, 0x0                        // initC
v_accvgpr_write acc243, 0x0                        // initC
v_accvgpr_write acc244, 0x0                        // initC
v_accvgpr_write acc245, 0x0                        // initC
v_accvgpr_write acc246, 0x0                        // initC
v_accvgpr_write acc247, 0x0                        // initC
v_accvgpr_write acc248, 0x0                        // initC
v_accvgpr_write acc249, 0x0                        // initC
v_accvgpr_write acc250, 0x0                        // initC
v_accvgpr_write acc251, 0x0                        // initC
v_accvgpr_write acc252, 0x0                        // initC
v_accvgpr_write acc253, 0x0                        // initC
v_accvgpr_write acc254, 0x0                        // initC
v_accvgpr_write acc255, 0x0                        // initC

s_cmp_eq_u32 s[sgprLoopCounterL], 0                // at last iteration?

/* after InitC, skip to end of prefetch last iter if numIter==0 */
s_cbranch_scc0 label_NoBranch_11                   // Only branch on scc1
s_getpc_B64 s[36:37]                               // addr of next instr
s_add_i32 s38, PrefetchGlobalLastIterEnd_5, 0x4    // target branch offset
s_add_u32 s36, s36, s38                            // add target branch offset
s_addc_u32 s37, s37, 0                             // add high and carry
s_setpc_b64 s[36:37]                               // branch to PrefetchGlobalLastIterEnd_5
label_NoBranch_11:

s_waitcnt vmcnt(0)                                 // lgkmcnt=-1 vmcnt=0 8wait for global read


/* local write a */
_ds_store_b32 v[vgprLocalWriteAddrA], v[vgprG2LA+0] offset:0 // lwoA_0_0_0_0 = (0*LSCA) + (0*LSPA)(*MT0I+PAD) = 0
_ds_store_b32 v[vgprLocalWriteAddrA], v[vgprG2LA+1] offset:256 // lwoA_1_0_0_0 = (1*LSCA) + (0*LSPA)(*MT0I+PAD) = 256
_ds_store_b32 v[vgprLocalWriteAddrA], v[vgprG2LA+2] offset:512 // lwoA_0_0_1_0 = (0*LSCA) + (1*LSPA)(*MT0I+PAD) = 512
_ds_store_b32 v[vgprLocalWriteAddrA], v[vgprG2LA+3] offset:768 // lwoA_1_0_1_0 = (1*LSCA) + (1*LSPA)(*MT0I+PAD) = 768
_ds_store_b32 v[vgprLocalWriteAddrA], v[vgprG2LA+4] offset:1024 // lwoA_0_0_2_0 = (0*LSCA) + (2*LSPA)(*MT0I+PAD) = 1024
_ds_store_b32 v[vgprLocalWriteAddrA], v[vgprG2LA+5] offset:1280 // lwoA_1_0_2_0 = (1*LSCA) + (2*LSPA)(*MT0I+PAD) = 1280
_ds_store_b32 v[vgprLocalWriteAddrA], v[vgprG2LA+6] offset:1536 // lwoA_0_0_3_0 = (0*LSCA) + (3*LSPA)(*MT0I+PAD) = 1536
_ds_store_b32 v[vgprLocalWriteAddrA], v[vgprG2LA+7] offset:1792 // lwoA_1_0_3_0 = (1*LSCA) + (3*LSPA)(*MT0I+PAD) = 1792
_ds_store_b32 v[vgprLocalWriteAddrA], v[vgprG2LA+8] offset:2048 // lwoA_0_0_4_0 = (0*LSCA) + (4*LSPA)(*MT0I+PAD) = 2048
_ds_store_b32 v[vgprLocalWriteAddrA], v[vgprG2LA+9] offset:2304 // lwoA_1_0_4_0 = (1*LSCA) + (4*LSPA)(*MT0I+PAD) = 2304
_ds_store_b32 v[vgprLocalWriteAddrA], v[vgprG2LA+10] offset:2560 // lwoA_0_0_5_0 = (0*LSCA) + (5*LSPA)(*MT0I+PAD) = 2560
_ds_store_b32 v[vgprLocalWriteAddrA], v[vgprG2LA+11] offset:2816 // lwoA_1_0_5_0 = (1*LSCA) + (5*LSPA)(*MT0I+PAD) = 2816
_ds_store_b32 v[vgprLocalWriteAddrA], v[vgprG2LA+12] offset:3072 // lwoA_0_0_6_0 = (0*LSCA) + (6*LSPA)(*MT0I+PAD) = 3072
_ds_store_b32 v[vgprLocalWriteAddrA], v[vgprG2LA+13] offset:3328 // lwoA_1_0_6_0 = (1*LSCA) + (6*LSPA)(*MT0I+PAD) = 3328
_ds_store_b32 v[vgprLocalWriteAddrA], v[vgprG2LA+14] offset:3584 // lwoA_0_0_7_0 = (0*LSCA) + (7*LSPA)(*MT0I+PAD) = 3584
_ds_store_b32 v[vgprLocalWriteAddrA], v[vgprG2LA+15] offset:3840 // lwoA_1_0_7_0 = (1*LSCA) + (7*LSPA)(*MT0I+PAD) = 3840

/* local write b */
_ds_store_b32 v[vgprLocalWriteAddrB], v[vgprG2LB+0] offset:0 // lwoB_0_0_0_0 = (0*LSCB)*(MT1J+PAD) + (0*LSPB) = 0
_ds_store_b32 v[vgprLocalWriteAddrB], v[vgprG2LB+1] offset:288 // lwoB_0_0_1_0 = (0*LSCB)*(MT1J+PAD) + (1*LSPB) = 288
_ds_store_b32 v[vgprLocalWriteAddrB], v[vgprG2LB+2] offset:576 // lwoB_0_0_2_0 = (0*LSCB)*(MT1J+PAD) + (2*LSPB) = 576
_ds_store_b32 v[vgprLocalWriteAddrB], v[vgprG2LB+3] offset:864 // lwoB_0_0_3_0 = (0*LSCB)*(MT1J+PAD) + (3*LSPB) = 864
_ds_store_b32 v[vgprLocalWriteAddrB], v[vgprG2LB+4] offset:1152 // lwoB_0_0_4_0 = (0*LSCB)*(MT1J+PAD) + (4*LSPB) = 1152
_ds_store_b32 v[vgprLocalWriteAddrB], v[vgprG2LB+5] offset:1440 // lwoB_0_0_5_0 = (0*LSCB)*(MT1J+PAD) + (5*LSPB) = 1440
_ds_store_b32 v[vgprLocalWriteAddrB], v[vgprG2LB+6] offset:1728 // lwoB_0_0_6_0 = (0*LSCB)*(MT1J+PAD) + (6*LSPB) = 1728
_ds_store_b32 v[vgprLocalWriteAddrB], v[vgprG2LB+7] offset:2016 // lwoB_0_0_7_0 = (0*LSCB)*(MT1J+PAD) + (7*LSPB) = 2016
_ds_store_b32 v[vgprLocalWriteAddrB], v[vgprG2LB+8] offset:2304 // lwoB_0_0_8_0 = (0*LSCB)*(MT1J+PAD) + (8*LSPB) = 2304
_ds_store_b32 v[vgprLocalWriteAddrB], v[vgprG2LB+9] offset:2592 // lwoB_0_0_9_0 = (0*LSCB)*(MT1J+PAD) + (9*LSPB) = 2592
_ds_store_b32 v[vgprLocalWriteAddrB], v[vgprG2LB+10] offset:2880 // lwoB_0_0_10_0 = (0*LSCB)*(MT1J+PAD) + (10*LSPB) = 2880
_ds_store_b32 v[vgprLocalWriteAddrB], v[vgprG2LB+11] offset:3168 // lwoB_0_0_11_0 = (0*LSCB)*(MT1J+PAD) + (11*LSPB) = 3168
_ds_store_b32 v[vgprLocalWriteAddrB], v[vgprG2LB+12] offset:3456 // lwoB_0_0_12_0 = (0*LSCB)*(MT1J+PAD) + (12*LSPB) = 3456
_ds_store_b32 v[vgprLocalWriteAddrB], v[vgprG2LB+13] offset:3744 // lwoB_0_0_13_0 = (0*LSCB)*(MT1J+PAD) + (13*LSPB) = 3744
_ds_store_b32 v[vgprLocalWriteAddrB], v[vgprG2LB+14] offset:4032 // lwoB_0_0_14_0 = (0*LSCB)*(MT1J+PAD) + (14*LSPB) = 4032
_ds_store_b32 v[vgprLocalWriteAddrB], v[vgprG2LB+15] offset:4320 // lwoB_0_0_15_0 = (0*LSCB)*(MT1J+PAD) + (15*LSPB) = 4320


/* local write swap a */


	;; [unrolled: 1-line block ×3, first 2 shown]
/* local write swap b */




s_waitcnt lgkmcnt(0)                               // lgkmcnt=0 vmcnt=-10prefetch wait for local write

s_waitcnt lgkmcnt(0) & vmcnt(0)                    // force waitcnt0
s_barrier //


/* local read prefetch a */

_ds_load_u16 v[vgprValuA_X0_I0+0], v[vgprLocalReadAddrA] offset:0 // L -> Reg lro=0 swapByteOffset=0 ti=128 vIdx=0 rIdx=0 oIdx=0 buffer=0 iui=0
_ds_load_u16_d16_hi v103, v[vgprLocalReadAddrA] offset:512 // L -> Reg lro=0 swapByteOffset=0 ti=128 vIdx=0 rIdx=1 oIdx=0 buffer=0 iui=0
_ds_load_u16 v[vgprValuA_X0_I0+1], v[vgprLocalReadAddrA] offset:1024 // L -> Reg lro=0 swapByteOffset=0 ti=128 vIdx=0 rIdx=2 oIdx=0 buffer=0 iui=0
_ds_load_u16_d16_hi v104, v[vgprLocalReadAddrA] offset:1536 // L -> Reg lro=0 swapByteOffset=0 ti=128 vIdx=0 rIdx=3 oIdx=0 buffer=0 iui=0
	;; [unrolled: 2-line block ×8, first 2 shown]


/* local read prefetch b */

_ds_load_b128 v[vgprValuB_X0_I0+0:vgprValuB_X0_I0+0+3], v[vgprLocalReadAddrB] offset:0 // L -> Reg lro=0 swapByteOffset=0 ti=128 vIdx=0 rIdx=0 oIdx=0 buffer=0 iui=0
_ds_load_b128 v[vgprValuB_X0_I0+4:vgprValuB_X0_I0+4+3], v[vgprLocalReadAddrB] offset:64 // L -> Reg lro=0 swapByteOffset=0 ti=128 vIdx=0 rIdx=0 oIdx=0 buffer=0 iui=0
	;; [unrolled: 1-line block ×4, first 2 shown]


/* local read inc a */

/* N/A, lro->1024 */
/* self.localReadDoCntA 1 self.localReadDoCntB 1 */


/* local read inc b */

/* N/A, lro->16 */
/* self.localReadDoCntA 1 self.localReadDoCntB 1 */


	;; [unrolled: 1-line block ×3, first 2 shown]
/******************************************/
/* Unrolled Loop(s) - Begin               */
/******************************************/

openLoopL_12:
s_cmp_le_u32 s[sgprLoopCounterL], 0x1              // LoopCounterL < EndCounter
s_cbranch_scc1 LoopEndL_2                          // do not enter LoopL
LoopBeginL_1:


/******************************************/
/* Unrolled Loop 1/2 - Begin              */
/******************************************/

label_0013: // LoopCopy1 


/* Begin Each Unroll: Check VGPR.checkin for INT8 LW */


	;; [unrolled: 1-line block ×3, first 2 shown]
/* iter 0 */

/*  grEndMfmaIndex:31, lwStartMfmaIndex:35, lwEndMfmaIndex:55  */
/*  numMfmaForLR:6, barrierMfmaIndex:57 */
/*  mfmaIndex:0  */
_buffer_load_b32 v[vgprG2LA+0], v[vgprGlobalReadOffsetA+0], s[sgprSrdA:sgprSrdA+3], 0, offen offset:0 // G -> Reg 0_0_0_0
s_waitcnt lgkmcnt(0)                               // lgkmcnt=0 vmcnt=-1wait for prior local read local write old=0, new=0 newLW=0 newLR=0
/* pack scheduling: packAIdx:2, packBIdx:0 */
v_or_b32 v[vgprValuA_X0_I0+0], v[vgprValuA_X0_I0+0], v103 // pack two half Vgpr to one Vgpr
v_or_b32 v[vgprValuA_X0_I0+1], v[vgprValuA_X0_I0+1], v104 // pack two half Vgpr to one Vgpr
v_or_b32 v[vgprValuA_X0_I0+2], v[vgprValuA_X0_I0+2], v105 // pack two half Vgpr to one Vgpr
v_or_b32 v[vgprValuA_X0_I0+3], v[vgprValuA_X0_I0+3], v106 // pack two half Vgpr to one Vgpr
v_mfma_f32_32x32x8f16 a[0+0:15+0], v[vgprValuA_X0_I0+0+0+0:vgprValuA_X0_I0+0+0+0+1], v[vgprValuB_X0_I0+0+0+0:vgprValuB_X0_I0+0+0+0+1], a[0:15]
/*  mfmaIndex:1  */
_ds_load_u16 v[vgprValuA_X1_I0+0], v[vgprLocalReadAddrA] offset:2048 // L -> Reg lro=1024 swapByteOffset=0 ti=128 vIdx=0 rIdx=0 oIdx=0 buffer=1 iui=0
_ds_load_u16_d16_hi v111, v[vgprLocalReadAddrA] offset:2560 // L -> Reg lro=1024 swapByteOffset=0 ti=128 vIdx=0 rIdx=1 oIdx=0 buffer=1 iui=0
_ds_load_u16 v[vgprValuA_X1_I0+1], v[vgprLocalReadAddrA] offset:3072 // L -> Reg lro=1024 swapByteOffset=0 ti=128 vIdx=0 rIdx=2 oIdx=0 buffer=1 iui=0
_ds_load_u16_d16_hi v112, v[vgprLocalReadAddrA] offset:3584 // L -> Reg lro=1024 swapByteOffset=0 ti=128 vIdx=0 rIdx=3 oIdx=0 buffer=1 iui=0
_ds_load_b128 v[vgprValuB_X2_I0+0:vgprValuB_X2_I0+0+3], v[vgprLocalReadAddrB] offset:32 // L -> Reg lro=16 swapByteOffset=0 ti=128 vIdx=0 rIdx=0 oIdx=0 buffer=2 iui=0
_buffer_load_b32 v[vgprG2LA+1], v[vgprGlobalReadOffsetA+0], s[sgprSrdA:sgprSrdA+3], s[sgprScalarGlobalReadOffsetA+0], offen offset:0 // G -> Reg 1_0_0_0
/* pack scheduling: packAIdx:4, packBIdx:0 */
v_or_b32 v[vgprValuA_X0_I0+4], v[vgprValuA_X0_I0+4], v107 // pack two half Vgpr to one Vgpr
v_or_b32 v[vgprValuA_X0_I0+5], v[vgprValuA_X0_I0+5], v108 // pack two half Vgpr to one Vgpr
	;; [unrolled: 1-line block ×4, first 2 shown]
v_mfma_f32_32x32x8f16 a[16+0:31+0], v[vgprValuA_X0_I0+2+0+0:vgprValuA_X0_I0+2+0+0+1], v[vgprValuB_X0_I0+0+0+0:vgprValuB_X0_I0+0+0+0+1], a[16:31]
/*  mfmaIndex:2  */
_ds_load_u16 v[vgprValuA_X1_I0+2], v[vgprLocalReadAddrA] offset:2050 // L -> Reg lro=1024 swapByteOffset=0 ti=128 vIdx=0 rIdx=0 oIdx=0 buffer=1 iui=0
_ds_load_u16_d16_hi v113, v[vgprLocalReadAddrA] offset:2562 // L -> Reg lro=1024 swapByteOffset=0 ti=128 vIdx=0 rIdx=1 oIdx=0 buffer=1 iui=0
_ds_load_u16 v[vgprValuA_X1_I0+3], v[vgprLocalReadAddrA] offset:3074 // L -> Reg lro=1024 swapByteOffset=0 ti=128 vIdx=0 rIdx=2 oIdx=0 buffer=1 iui=0
_ds_load_u16_d16_hi v114, v[vgprLocalReadAddrA] offset:3586 // L -> Reg lro=1024 swapByteOffset=0 ti=128 vIdx=0 rIdx=3 oIdx=0 buffer=1 iui=0
	;; [unrolled: 2-line block ×3, first 2 shown]
_buffer_load_b32 v[vgprG2LA+2], v[vgprGlobalReadOffsetA+0], s[sgprSrdA:sgprSrdA+3], s[sgprScalarGlobalReadOffsetA+1], offen offset:0 // G -> Reg 0_0_1_0
v_mfma_f32_32x32x8f16 a[32+0:47+0], v[vgprValuA_X0_I0+4+0+0:vgprValuA_X0_I0+4+0+0+1], v[vgprValuB_X0_I0+0+0+0:vgprValuB_X0_I0+0+0+0+1], a[32:47]
/*  mfmaIndex:3  */
_ds_load_u16 v[vgprValuA_X1_I0+5], v[vgprLocalReadAddrA] offset:3328 // L -> Reg lro=1024 swapByteOffset=0 ti=128 vIdx=1 rIdx=2 oIdx=0 buffer=1 iui=0
_ds_load_u16_d16_hi v116, v[vgprLocalReadAddrA] offset:3840 // L -> Reg lro=1024 swapByteOffset=0 ti=128 vIdx=1 rIdx=3 oIdx=0 buffer=1 iui=0
_ds_load_u16 v[vgprValuA_X1_I0+6], v[vgprLocalReadAddrA] offset:2306 // L -> Reg lro=1024 swapByteOffset=0 ti=128 vIdx=1 rIdx=0 oIdx=0 buffer=1 iui=0
_ds_load_u16_d16_hi v117, v[vgprLocalReadAddrA] offset:2818 // L -> Reg lro=1024 swapByteOffset=0 ti=128 vIdx=1 rIdx=1 oIdx=0 buffer=1 iui=0
	;; [unrolled: 2-line block ×3, first 2 shown]
_buffer_load_b32 v[vgprG2LA+3], v[vgprGlobalReadOffsetA+0], s[sgprSrdA:sgprSrdA+3], s[sgprScalarGlobalReadOffsetA+2], offen offset:0 // G -> Reg 1_0_1_0
v_mfma_f32_32x32x8f16 a[48+0:63+0], v[vgprValuA_X0_I0+6+0+0:vgprValuA_X0_I0+6+0+0+1], v[vgprValuB_X0_I0+0+0+0:vgprValuB_X0_I0+0+0+0+1], a[48:63]
/*  mfmaIndex:4  */
_ds_load_b128 v[vgprValuB_X2_I0+4:vgprValuB_X2_I0+4+3], v[vgprLocalReadAddrB] offset:96 // L -> Reg lro=16 swapByteOffset=0 ti=128 vIdx=0 rIdx=0 oIdx=0 buffer=2 iui=0
_ds_load_b128 v[vgprValuB_X2_I0+8:vgprValuB_X2_I0+8+3], v[vgprLocalReadAddrB] offset:9248 // L -> Reg lro=16 swapByteOffset=0 ti=128 vIdx=1 rIdx=0 oIdx=0 buffer=2 iui=0
	;; [unrolled: 1-line block ×3, first 2 shown]
/* localReadsVacancy: latencyLeft 1 */
_buffer_load_b32 v[vgprG2LA+4], v[vgprGlobalReadOffsetA+0], s[sgprSrdA:sgprSrdA+3], s[sgprScalarGlobalReadOffsetA+3], offen offset:0 // G -> Reg 0_0_2_0
v_mfma_f32_32x32x8f16 a[112+0:127+0], v[vgprValuA_X0_I0+6+0+0:vgprValuA_X0_I0+6+0+0+1], v[vgprValuB_X0_I0+4+0+0:vgprValuB_X0_I0+4+0+0+1], a[112:127]
/*  mfmaIndex:5  */
/* localReadsVacancy: latencyLeft 13 */
_ds_load_u16 v[vgprValuA_X2_I0+0], v[vgprLocalReadAddrA] offset:8192 // L -> Reg lro=4096 swapByteOffset=0 ti=128 vIdx=0 rIdx=0 oIdx=0 buffer=2 iui=0
_ds_load_u16 v[vgprValuA_X2_I0+1], v[vgprLocalReadAddrA] offset:9216 // L -> Reg lro=4096 swapByteOffset=0 ti=128 vIdx=0 rIdx=2 oIdx=0 buffer=2 iui=0
_ds_load_u16 v[vgprValuA_X2_I0+2], v[vgprLocalReadAddrA] offset:8194 // L -> Reg lro=4096 swapByteOffset=0 ti=128 vIdx=0 rIdx=0 oIdx=0 buffer=2 iui=0
_ds_load_u16 v[vgprValuA_X2_I0+3], v[vgprLocalReadAddrA] offset:9218 // L -> Reg lro=4096 swapByteOffset=0 ti=128 vIdx=0 rIdx=2 oIdx=0 buffer=2 iui=0
_ds_load_u16 v[vgprValuA_X2_I0+4], v[vgprLocalReadAddrA] offset:8448 // L -> Reg lro=4096 swapByteOffset=0 ti=128 vIdx=1 rIdx=0 oIdx=0 buffer=2 iui=0
_ds_load_u16 v[vgprValuA_X2_I0+5], v[vgprLocalReadAddrA] offset:9472 // L -> Reg lro=4096 swapByteOffset=0 ti=128 vIdx=1 rIdx=2 oIdx=0 buffer=2 iui=0
_buffer_load_b32 v[vgprG2LA+5], v[vgprGlobalReadOffsetA+0], s[sgprSrdA:sgprSrdA+3], s[sgprScalarGlobalReadOffsetA+4], offen offset:0 // G -> Reg 1_0_2_0
v_mfma_f32_32x32x8f16 a[96+0:111+0], v[vgprValuA_X0_I0+4+0+0:vgprValuA_X0_I0+4+0+0+1], v[vgprValuB_X0_I0+4+0+0:vgprValuB_X0_I0+4+0+0+1], a[96:111]
/*  mfmaIndex:6  */
/* localReadsVacancy: latencyLeft 13 */
_ds_load_u16 v[vgprValuA_X2_I0+6], v[vgprLocalReadAddrA] offset:8450 // L -> Reg lro=4096 swapByteOffset=0 ti=128 vIdx=1 rIdx=0 oIdx=0 buffer=2 iui=0
_ds_load_u16 v[vgprValuA_X2_I0+7], v[vgprLocalReadAddrA] offset:9474 // L -> Reg lro=4096 swapByteOffset=0 ti=128 vIdx=1 rIdx=2 oIdx=0 buffer=2 iui=0
_ds_load_u16 v[vgprValuA_X3_I0+0], v[vgprLocalReadAddrA] offset:10240 // L -> Reg lro=5120 swapByteOffset=0 ti=128 vIdx=0 rIdx=0 oIdx=0 buffer=3 iui=0
_ds_load_u16 v[vgprValuA_X3_I0+1], v[vgprLocalReadAddrA] offset:11264 // L -> Reg lro=5120 swapByteOffset=0 ti=128 vIdx=0 rIdx=2 oIdx=0 buffer=3 iui=0
	;; [unrolled: 1-line block ×4, first 2 shown]
_buffer_load_b32 v[vgprG2LA+6], v[vgprGlobalReadOffsetA+0], s[sgprSrdA:sgprSrdA+3], s[sgprScalarGlobalReadOffsetA+5], offen offset:0 // G -> Reg 0_0_3_0
v_mfma_f32_32x32x8f16 a[80+0:95+0], v[vgprValuA_X0_I0+2+0+0:vgprValuA_X0_I0+2+0+0+1], v[vgprValuB_X0_I0+4+0+0:vgprValuB_X0_I0+4+0+0+1], a[80:95]
/*  mfmaIndex:7  */
/* localReadsVacancy: latencyLeft 13 */
_ds_load_u16 v[vgprValuA_X3_I0+4], v[vgprLocalReadAddrA] offset:10496 // L -> Reg lro=5120 swapByteOffset=0 ti=128 vIdx=1 rIdx=0 oIdx=0 buffer=3 iui=0
_ds_load_u16 v[vgprValuA_X3_I0+5], v[vgprLocalReadAddrA] offset:11520 // L -> Reg lro=5120 swapByteOffset=0 ti=128 vIdx=1 rIdx=2 oIdx=0 buffer=3 iui=0
	;; [unrolled: 1-line block ×4, first 2 shown]
_buffer_load_b32 v[vgprG2LA+7], v[vgprGlobalReadOffsetA+0], s[sgprSrdA:sgprSrdA+3], s[sgprScalarGlobalReadOffsetA+6], offen offset:0 // G -> Reg 1_0_3_0
v_mfma_f32_32x32x8f16 a[64+0:79+0], v[vgprValuA_X0_I0+0+0+0:vgprValuA_X0_I0+0+0+0+1], v[vgprValuB_X0_I0+4+0+0:vgprValuB_X0_I0+4+0+0+1], a[64:79]
/*  mfmaIndex:8  */
/* localReadsVacancy: latencyLeft 13 */
_buffer_load_b32 v[vgprG2LA+8], v[vgprGlobalReadOffsetA+0], s[sgprSrdA:sgprSrdA+3], s[sgprScalarGlobalReadOffsetA+7], offen offset:0 // G -> Reg 0_0_4_0
v_mfma_f32_32x32x8f16 a[128+0:143+0], v[vgprValuA_X0_I0+0+0+0:vgprValuA_X0_I0+0+0+0+1], v[vgprValuB_X0_I0+8+0+0:vgprValuB_X0_I0+8+0+0+1], a[128:143]
/*  mfmaIndex:9  */
/* localReadsVacancy: latencyLeft 13 */
_buffer_load_b32 v[vgprG2LA+9], v[vgprGlobalReadOffsetA+0], s[sgprSrdA:sgprSrdA+3], s[sgprScalarGlobalReadOffsetA+8], offen offset:0 // G -> Reg 1_0_4_0
v_mfma_f32_32x32x8f16 a[144+0:159+0], v[vgprValuA_X0_I0+2+0+0:vgprValuA_X0_I0+2+0+0+1], v[vgprValuB_X0_I0+8+0+0:vgprValuB_X0_I0+8+0+0+1], a[144:159]
/*  mfmaIndex:10  */
/* localReadsVacancy: latencyLeft 13 */
_buffer_load_b32 v[vgprG2LA+10], v[vgprGlobalReadOffsetA+0], s[sgprSrdA:sgprSrdA+3], s[sgprScalarGlobalReadOffsetA+9], offen offset:0 // G -> Reg 0_0_5_0
v_mfma_f32_32x32x8f16 a[160+0:175+0], v[vgprValuA_X0_I0+4+0+0:vgprValuA_X0_I0+4+0+0+1], v[vgprValuB_X0_I0+8+0+0:vgprValuB_X0_I0+8+0+0+1], a[160:175]
/*  mfmaIndex:11  */
/* localReadsVacancy: latencyLeft 13 */
_buffer_load_b32 v[vgprG2LA+11], v[vgprGlobalReadOffsetA+0], s[sgprSrdA:sgprSrdA+3], s[sgprScalarGlobalReadOffsetA+10], offen offset:0 // G -> Reg 1_0_5_0
v_mfma_f32_32x32x8f16 a[176+0:191+0], v[vgprValuA_X0_I0+6+0+0:vgprValuA_X0_I0+6+0+0+1], v[vgprValuB_X0_I0+8+0+0:vgprValuB_X0_I0+8+0+0+1], a[176:191]
/*  mfmaIndex:12  */
/* localReadsVacancy: latencyLeft 13 */
_buffer_load_b32 v[vgprG2LA+12], v[vgprGlobalReadOffsetA+0], s[sgprSrdA:sgprSrdA+3], s[sgprScalarGlobalReadOffsetA+11], offen offset:0 // G -> Reg 0_0_6_0
v_mfma_f32_32x32x8f16 a[240+0:255+0], v[vgprValuA_X0_I0+6+0+0:vgprValuA_X0_I0+6+0+0+1], v[vgprValuB_X0_I0+12+0+0:vgprValuB_X0_I0+12+0+0+1], a[240:255]
/*  mfmaIndex:13  */
/* localReadsVacancy: latencyLeft 13 */
_buffer_load_b32 v[vgprG2LA+13], v[vgprGlobalReadOffsetA+0], s[sgprSrdA:sgprSrdA+3], s[sgprScalarGlobalReadOffsetA+12], offen offset:0 // G -> Reg 1_0_6_0
v_mfma_f32_32x32x8f16 a[224+0:239+0], v[vgprValuA_X0_I0+4+0+0:vgprValuA_X0_I0+4+0+0+1], v[vgprValuB_X0_I0+12+0+0:vgprValuB_X0_I0+12+0+0+1], a[224:239]
/*  mfmaIndex:14  */
/* localReadsVacancy: latencyLeft 13 */
_buffer_load_b32 v[vgprG2LA+14], v[vgprGlobalReadOffsetA+0], s[sgprSrdA:sgprSrdA+3], s[sgprScalarGlobalReadOffsetA+13], offen offset:0 // G -> Reg 0_0_7_0
v_mfma_f32_32x32x8f16 a[208+0:223+0], v[vgprValuA_X0_I0+2+0+0:vgprValuA_X0_I0+2+0+0+1], v[vgprValuB_X0_I0+12+0+0:vgprValuB_X0_I0+12+0+0+1], a[208:223]
/*  mfmaIndex:15  */
/* localReadsVacancy: latencyLeft 13 */
_buffer_load_b32 v[vgprG2LA+15], v[vgprGlobalReadOffsetA+0], s[sgprSrdA:sgprSrdA+3], s[sgprScalarGlobalReadOffsetA+14], offen offset:0 // G -> Reg 1_0_7_0
v_mfma_f32_32x32x8f16 a[192+0:207+0], v[vgprValuA_X0_I0+0+0+0:vgprValuA_X0_I0+0+0+0+1], v[vgprValuB_X0_I0+12+0+0:vgprValuB_X0_I0+12+0+0+1], a[192:207]
/* numPrefetchIter=0 */
/* dataAtIterA=-1 numReadsIterA=1 skipReadsIterA=1 readsPerIterA=16 */
/* dataAtIterB=-1 numReadsIterB=1 skipReadsIterB=1 readsPerIterB=4 */


/* iter 1 */

/*  grEndMfmaIndex:31, lwStartMfmaIndex:35, lwEndMfmaIndex:55  */
/*  numMfmaForLR:6, barrierMfmaIndex:57 */
/*  mfmaIndex:16  */
_ds_load_u16_d16_hi v103, v[vgprLocalReadAddrA] offset:8704 // L -> Reg lro=4096 swapByteOffset=0 ti=128 vIdx=0 rIdx=1 oIdx=0 buffer=2 iui=0
_ds_load_u16_d16_hi v104, v[vgprLocalReadAddrA] offset:9728 // L -> Reg lro=4096 swapByteOffset=0 ti=128 vIdx=0 rIdx=3 oIdx=0 buffer=2 iui=0
_ds_load_u16_d16_hi v105, v[vgprLocalReadAddrA] offset:8706 // L -> Reg lro=4096 swapByteOffset=0 ti=128 vIdx=0 rIdx=1 oIdx=0 buffer=2 iui=0
_ds_load_u16_d16_hi v106, v[vgprLocalReadAddrA] offset:9730 // L -> Reg lro=4096 swapByteOffset=0 ti=128 vIdx=0 rIdx=3 oIdx=0 buffer=2 iui=0
_ds_load_u16_d16_hi v107, v[vgprLocalReadAddrA] offset:8960 // L -> Reg lro=4096 swapByteOffset=0 ti=128 vIdx=1 rIdx=1 oIdx=0 buffer=2 iui=0
_ds_load_u16_d16_hi v108, v[vgprLocalReadAddrA] offset:9984 // L -> Reg lro=4096 swapByteOffset=0 ti=128 vIdx=1 rIdx=3 oIdx=0 buffer=2 iui=0
_buffer_load_b32 v[vgprG2LB+0], v[vgprGlobalReadOffsetB+0], s[sgprSrdB:sgprSrdB+3], 0, offen offset:0 // G -> Reg 0_0_0_0
s_waitcnt lgkmcnt(15)                              // lgkmcnt=0 vmcnt=-1wait for prior local read local write old=8, new=14 newLW=0 newLR=6
/* pack scheduling: packAIdx:2, packBIdx:0 */
v_or_b32 v[vgprValuA_X1_I0+0], v[vgprValuA_X1_I0+0], v111 // pack two half Vgpr to one Vgpr
v_or_b32 v[vgprValuA_X1_I0+1], v[vgprValuA_X1_I0+1], v112 // pack two half Vgpr to one Vgpr
	;; [unrolled: 1-line block ×4, first 2 shown]
v_mfma_f32_32x32x8f16 a[0+0:15+0], v[vgprValuA_X1_I0+0+0+0:vgprValuA_X1_I0+0+0+0+1], v[vgprValuB_X0_I0+0+2+0:vgprValuB_X0_I0+0+2+0+1], a[0:15]
/*  mfmaIndex:17  */
_ds_load_u16_d16_hi v109, v[vgprLocalReadAddrA] offset:8962 // L -> Reg lro=4096 swapByteOffset=0 ti=128 vIdx=1 rIdx=1 oIdx=0 buffer=2 iui=0
_ds_load_u16_d16_hi v110, v[vgprLocalReadAddrA] offset:9986 // L -> Reg lro=4096 swapByteOffset=0 ti=128 vIdx=1 rIdx=3 oIdx=0 buffer=2 iui=0
/* localReadsVacancy: latencyLeft 9 */
_buffer_load_b32 v[vgprG2LB+1], v[vgprGlobalReadOffsetB+0], s[sgprSrdB:sgprSrdB+3], s[sgprScalarGlobalReadOffsetB+0], offen offset:0 // G -> Reg 0_0_1_0
/* pack scheduling: packAIdx:4, packBIdx:0 */
v_or_b32 v[vgprValuA_X1_I0+4], v[vgprValuA_X1_I0+4], v115 // pack two half Vgpr to one Vgpr
v_or_b32 v[vgprValuA_X1_I0+5], v[vgprValuA_X1_I0+5], v116 // pack two half Vgpr to one Vgpr
v_or_b32 v[vgprValuA_X1_I0+6], v[vgprValuA_X1_I0+6], v117 // pack two half Vgpr to one Vgpr
v_or_b32 v[vgprValuA_X1_I0+7], v[vgprValuA_X1_I0+7], v118 // pack two half Vgpr to one Vgpr
v_mfma_f32_32x32x8f16 a[16+0:31+0], v[vgprValuA_X1_I0+2+0+0:vgprValuA_X1_I0+2+0+0+1], v[vgprValuB_X0_I0+0+2+0:vgprValuB_X0_I0+0+2+0+1], a[16:31]
/*  mfmaIndex:18  */
/* localReadsVacancy: latencyLeft 13 */
_buffer_load_b32 v[vgprG2LB+2], v[vgprGlobalReadOffsetB+0], s[sgprSrdB:sgprSrdB+3], s[sgprScalarGlobalReadOffsetB+1], offen offset:0 // G -> Reg 0_0_2_0
v_mfma_f32_32x32x8f16 a[32+0:47+0], v[vgprValuA_X1_I0+4+0+0:vgprValuA_X1_I0+4+0+0+1], v[vgprValuB_X0_I0+0+2+0:vgprValuB_X0_I0+0+2+0+1], a[32:47]
/*  mfmaIndex:19  */
/* localReadsVacancy: latencyLeft 13 */
_buffer_load_b32 v[vgprG2LB+3], v[vgprGlobalReadOffsetB+0], s[sgprSrdB:sgprSrdB+3], s[sgprScalarGlobalReadOffsetB+2], offen offset:0 // G -> Reg 0_0_3_0
v_mfma_f32_32x32x8f16 a[48+0:63+0], v[vgprValuA_X1_I0+6+0+0:vgprValuA_X1_I0+6+0+0+1], v[vgprValuB_X0_I0+0+2+0:vgprValuB_X0_I0+0+2+0+1], a[48:63]
/*  mfmaIndex:20  */
/* localReadsVacancy: latencyLeft 13 */
_buffer_load_b32 v[vgprG2LB+4], v[vgprGlobalReadOffsetB+0], s[sgprSrdB:sgprSrdB+3], s[sgprScalarGlobalReadOffsetB+3], offen offset:0 // G -> Reg 0_0_4_0
v_mfma_f32_32x32x8f16 a[112+0:127+0], v[vgprValuA_X1_I0+6+0+0:vgprValuA_X1_I0+6+0+0+1], v[vgprValuB_X0_I0+4+2+0:vgprValuB_X0_I0+4+2+0+1], a[112:127]
/*  mfmaIndex:21  */
/* localReadsVacancy: latencyLeft 13 */
_buffer_load_b32 v[vgprG2LB+5], v[vgprGlobalReadOffsetB+0], s[sgprSrdB:sgprSrdB+3], s[sgprScalarGlobalReadOffsetB+4], offen offset:0 // G -> Reg 0_0_5_0
v_mfma_f32_32x32x8f16 a[96+0:111+0], v[vgprValuA_X1_I0+4+0+0:vgprValuA_X1_I0+4+0+0+1], v[vgprValuB_X0_I0+4+2+0:vgprValuB_X0_I0+4+2+0+1], a[96:111]
/*  mfmaIndex:22  */
/* localReadsVacancy: latencyLeft 13 */
_buffer_load_b32 v[vgprG2LB+6], v[vgprGlobalReadOffsetB+0], s[sgprSrdB:sgprSrdB+3], s[sgprScalarGlobalReadOffsetB+5], offen offset:0 // G -> Reg 0_0_6_0
v_mfma_f32_32x32x8f16 a[80+0:95+0], v[vgprValuA_X1_I0+2+0+0:vgprValuA_X1_I0+2+0+0+1], v[vgprValuB_X0_I0+4+2+0:vgprValuB_X0_I0+4+2+0+1], a[80:95]
/*  mfmaIndex:23  */
/* localReadsVacancy: latencyLeft 13 */
_buffer_load_b32 v[vgprG2LB+7], v[vgprGlobalReadOffsetB+0], s[sgprSrdB:sgprSrdB+3], s[sgprScalarGlobalReadOffsetB+6], offen offset:0 // G -> Reg 0_0_7_0
v_mfma_f32_32x32x8f16 a[64+0:79+0], v[vgprValuA_X1_I0+0+0+0:vgprValuA_X1_I0+0+0+0+1], v[vgprValuB_X0_I0+4+2+0:vgprValuB_X0_I0+4+2+0+1], a[64:79]
/*  mfmaIndex:24  */
/* localReadsVacancy: latencyLeft 13 */
_buffer_load_b32 v[vgprG2LB+8], v[vgprGlobalReadOffsetB+0], s[sgprSrdB:sgprSrdB+3], s[sgprScalarGlobalReadOffsetB+7], offen offset:0 // G -> Reg 0_0_8_0
v_mfma_f32_32x32x8f16 a[128+0:143+0], v[vgprValuA_X1_I0+0+0+0:vgprValuA_X1_I0+0+0+0+1], v[vgprValuB_X0_I0+8+2+0:vgprValuB_X0_I0+8+2+0+1], a[128:143]
/*  mfmaIndex:25  */
/* localReadsVacancy: latencyLeft 13 */
_buffer_load_b32 v[vgprG2LB+9], v[vgprGlobalReadOffsetB+0], s[sgprSrdB:sgprSrdB+3], s[sgprScalarGlobalReadOffsetB+8], offen offset:0 // G -> Reg 0_0_9_0
v_mfma_f32_32x32x8f16 a[144+0:159+0], v[vgprValuA_X1_I0+2+0+0:vgprValuA_X1_I0+2+0+0+1], v[vgprValuB_X0_I0+8+2+0:vgprValuB_X0_I0+8+2+0+1], a[144:159]
/*  mfmaIndex:26  */
/* localReadsVacancy: latencyLeft 13 */
_buffer_load_b32 v[vgprG2LB+10], v[vgprGlobalReadOffsetB+0], s[sgprSrdB:sgprSrdB+3], s[sgprScalarGlobalReadOffsetB+9], offen offset:0 // G -> Reg 0_0_10_0
v_mfma_f32_32x32x8f16 a[160+0:175+0], v[vgprValuA_X1_I0+4+0+0:vgprValuA_X1_I0+4+0+0+1], v[vgprValuB_X0_I0+8+2+0:vgprValuB_X0_I0+8+2+0+1], a[160:175]
/*  mfmaIndex:27  */
/* localReadsVacancy: latencyLeft 13 */
_buffer_load_b32 v[vgprG2LB+11], v[vgprGlobalReadOffsetB+0], s[sgprSrdB:sgprSrdB+3], s[sgprScalarGlobalReadOffsetB+10], offen offset:0 // G -> Reg 0_0_11_0
v_mfma_f32_32x32x8f16 a[176+0:191+0], v[vgprValuA_X1_I0+6+0+0:vgprValuA_X1_I0+6+0+0+1], v[vgprValuB_X0_I0+8+2+0:vgprValuB_X0_I0+8+2+0+1], a[176:191]
/*  mfmaIndex:28  */
/* localReadsVacancy: latencyLeft 13 */
_buffer_load_b32 v[vgprG2LB+12], v[vgprGlobalReadOffsetB+0], s[sgprSrdB:sgprSrdB+3], s[sgprScalarGlobalReadOffsetB+11], offen offset:0 // G -> Reg 0_0_12_0
v_mfma_f32_32x32x8f16 a[240+0:255+0], v[vgprValuA_X1_I0+6+0+0:vgprValuA_X1_I0+6+0+0+1], v[vgprValuB_X0_I0+12+2+0:vgprValuB_X0_I0+12+2+0+1], a[240:255]
/*  mfmaIndex:29  */
/* localReadsVacancy: latencyLeft 13 */
_buffer_load_b32 v[vgprG2LB+13], v[vgprGlobalReadOffsetB+0], s[sgprSrdB:sgprSrdB+3], s[sgprScalarGlobalReadOffsetB+12], offen offset:0 // G -> Reg 0_0_13_0
v_mfma_f32_32x32x8f16 a[224+0:239+0], v[vgprValuA_X1_I0+4+0+0:vgprValuA_X1_I0+4+0+0+1], v[vgprValuB_X0_I0+12+2+0:vgprValuB_X0_I0+12+2+0+1], a[224:239]
/*  mfmaIndex:30  */
/* localReadsVacancy: latencyLeft 13 */
_buffer_load_b32 v[vgprG2LB+14], v[vgprGlobalReadOffsetB+0], s[sgprSrdB:sgprSrdB+3], s[sgprScalarGlobalReadOffsetB+13], offen offset:0 // G -> Reg 0_0_14_0
v_mfma_f32_32x32x8f16 a[208+0:223+0], v[vgprValuA_X1_I0+2+0+0:vgprValuA_X1_I0+2+0+0+1], v[vgprValuB_X0_I0+12+2+0:vgprValuB_X0_I0+12+2+0+1], a[208:223]
/*  mfmaIndex:31  */
/* localReadsVacancy: latencyLeft 13 */
_buffer_load_b32 v[vgprG2LB+15], v[vgprGlobalReadOffsetB+0], s[sgprSrdB:sgprSrdB+3], s[sgprScalarGlobalReadOffsetB+14], offen offset:0 // G -> Reg 0_0_15_0
v_mfma_f32_32x32x8f16 a[192+0:207+0], v[vgprValuA_X1_I0+0+0+0:vgprValuA_X1_I0+0+0+0+1], v[vgprValuB_X0_I0+12+2+0:vgprValuB_X0_I0+12+2+0+1], a[192:207]
/* numPrefetchIter=0 */
/* dataAtIterA=0 numReadsIterA=2 skipReadsIterA=1 readsPerIterA=16 */
/* dataAtIterB=-1 numReadsIterB=1 skipReadsIterB=0 readsPerIterB=4 */


/* iter 2 (reset local read pointers iteration)  (swap local read pointers iteration)  */

/*  grEndMfmaIndex:31, lwStartMfmaIndex:35, lwEndMfmaIndex:55  */
/*  numMfmaForLR:6, barrierMfmaIndex:57 */
/*  mfmaIndex:32  */
_ds_load_u16_d16_hi v111, v[vgprLocalReadAddrA] offset:10752 // L -> Reg lro=5120 swapByteOffset=0 ti=128 vIdx=0 rIdx=1 oIdx=0 buffer=3 iui=0
_ds_load_u16_d16_hi v112, v[vgprLocalReadAddrA] offset:11776 // L -> Reg lro=5120 swapByteOffset=0 ti=128 vIdx=0 rIdx=3 oIdx=0 buffer=3 iui=0
	;; [unrolled: 1-line block ×6, first 2 shown]

/* global read inc A loopL */
s_add_u32 s[sgprSrdA+0], s[sgprSrdA+0], s[sgprGlobalReadIncsA+0] // gra SRD += inc(lower)
s_addc_u32  s[sgprSrdA+1], s[sgprSrdA+1], 0        // gra SRD += inc(upper)
s_sub_u32 s[sgprShadowLimitA+0], s[sgprShadowLimitA+0], s[sgprGlobalReadIncsA+0] // limit -= inc)
s_subb_u32 s[sgprShadowLimitA+1], s[sgprShadowLimitA+1], 0 // limit -= inc)
s_cmp_eq_u32 s[sgprShadowLimitA+1], 0              // are we within 2^32?
s_cmov_b32 s[sgprSrdA+2], s[sgprShadowLimitA+0]    // Move shadow to real if we are within 2^32

/* global read inc B loopL */
s_add_u32 s[sgprSrdB+0], s[sgprSrdB+0], s[sgprGlobalReadIncsB+0] // gra SRD += inc(lower)
s_waitcnt lgkmcnt(6)                               // lgkmcnt=0 vmcnt=-1wait for prior local read local write old=0, new=6 newLW=0 newLR=6
/* pack scheduling: packAIdx:2, packBIdx:0 */
v_or_b32 v[vgprValuA_X2_I0+0], v[vgprValuA_X2_I0+0], v103 // pack two half Vgpr to one Vgpr
v_or_b32 v[vgprValuA_X2_I0+1], v[vgprValuA_X2_I0+1], v104 // pack two half Vgpr to one Vgpr
	;; [unrolled: 1-line block ×4, first 2 shown]
v_mfma_f32_32x32x8f16 a[0+0:15+0], v[vgprValuA_X2_I0+0+0+0:vgprValuA_X2_I0+0+0+0+1], v[vgprValuB_X2_I0+0+0+0:vgprValuB_X2_I0+0+0+0+1], a[0:15]
/*  mfmaIndex:33  */
_ds_load_u16_d16_hi v117, v[vgprLocalReadAddrA] offset:11010 // L -> Reg lro=5120 swapByteOffset=0 ti=128 vIdx=1 rIdx=1 oIdx=0 buffer=3 iui=0
_ds_load_u16_d16_hi v118, v[vgprLocalReadAddrA] offset:12034 // L -> Reg lro=5120 swapByteOffset=0 ti=128 vIdx=1 rIdx=3 oIdx=0 buffer=3 iui=0
/* localReadsVacancy: latencyLeft 9 */
s_addc_u32  s[sgprSrdB+1], s[sgprSrdB+1], 0        // gra SRD += inc(upper)
s_sub_u32 s[sgprShadowLimitB+0], s[sgprShadowLimitB+0], s[sgprGlobalReadIncsB+0] // limit -= inc)
s_subb_u32 s[sgprShadowLimitB+1], s[sgprShadowLimitB+1], 0 // limit -= inc)
s_cmp_eq_u32 s[sgprShadowLimitB+1], 0              // are we within 2^32?
s_cmov_b32 s[sgprSrdB+2], s[sgprShadowLimitB+0]    // Move shadow to real if we are within 2^32
/* pack scheduling: packAIdx:4, packBIdx:0 */
v_or_b32 v[vgprValuA_X2_I0+4], v[vgprValuA_X2_I0+4], v107 // pack two half Vgpr to one Vgpr
v_or_b32 v[vgprValuA_X2_I0+5], v[vgprValuA_X2_I0+5], v108 // pack two half Vgpr to one Vgpr
	;; [unrolled: 1-line block ×4, first 2 shown]
v_mfma_f32_32x32x8f16 a[16+0:31+0], v[vgprValuA_X2_I0+2+0+0:vgprValuA_X2_I0+2+0+0+1], v[vgprValuB_X2_I0+0+0+0:vgprValuB_X2_I0+0+0+0+1], a[16:31]
/*  mfmaIndex:34  */
/* localReadsVacancy: latencyLeft 13 */
/* 1 LDS buffer: read-sync-write */
s_waitcnt lgkmcnt(0)                               // 
s_barrier                                          // 
v_mfma_f32_32x32x8f16 a[32+0:47+0], v[vgprValuA_X2_I0+4+0+0:vgprValuA_X2_I0+4+0+0+1], v[vgprValuB_X2_I0+0+0+0:vgprValuB_X2_I0+0+0+0+1], a[32:47]
/*  mfmaIndex:35  */
/* localReadsVacancy: latencyLeft 5 */
/* sched write - iter 2 writesPerItem=1 */
s_waitcnt vmcnt(0)                                 // lgkmcnt=-1 vmcnt=0wait for global read before writing to local
_ds_store_b32 v[vgprLocalWriteAddrA], v[vgprG2LA+0] offset:0 // lwoA_0_0_0_0 = (0*LSCA) + (0*LSPA)(*MT0I+PAD) = 0
/* sched write - iter 2 writesPerItem=1 */
s_waitcnt vmcnt(0)                                 // lgkmcnt=-1 vmcnt=0wait for global read before writing to local
_ds_store_b32 v[vgprLocalWriteAddrA], v[vgprG2LA+1] offset:256 // lwoA_1_0_0_0 = (1*LSCA) + (0*LSPA)(*MT0I+PAD) = 256
v_mfma_f32_32x32x8f16 a[48+0:63+0], v[vgprValuA_X2_I0+6+0+0:vgprValuA_X2_I0+6+0+0+1], v[vgprValuB_X2_I0+0+0+0:vgprValuB_X2_I0+0+0+0+1], a[48:63]
/*  mfmaIndex:36  */
/* sched write - iter 2 writesPerItem=1 */
s_waitcnt vmcnt(0)                                 // lgkmcnt=-1 vmcnt=0wait for global read before writing to local
_ds_store_b32 v[vgprLocalWriteAddrA], v[vgprG2LA+2] offset:512 // lwoA_0_0_1_0 = (0*LSCA) + (1*LSPA)(*MT0I+PAD) = 512
/* sched write - iter 2 writesPerItem=1 */
s_waitcnt vmcnt(0)                                 // lgkmcnt=-1 vmcnt=0wait for global read before writing to local
_ds_store_b32 v[vgprLocalWriteAddrA], v[vgprG2LA+3] offset:768 // lwoA_1_0_1_0 = (1*LSCA) + (1*LSPA)(*MT0I+PAD) = 768
v_mfma_f32_32x32x8f16 a[112+0:127+0], v[vgprValuA_X2_I0+6+0+0:vgprValuA_X2_I0+6+0+0+1], v[vgprValuB_X2_I0+4+0+0:vgprValuB_X2_I0+4+0+0+1], a[112:127]
/*  mfmaIndex:37  */
/* sched write - iter 2 writesPerItem=1 */
s_waitcnt vmcnt(0)                                 // lgkmcnt=-1 vmcnt=0wait for global read before writing to local
_ds_store_b32 v[vgprLocalWriteAddrA], v[vgprG2LA+4] offset:1024 // lwoA_0_0_2_0 = (0*LSCA) + (2*LSPA)(*MT0I+PAD) = 1024
v_mfma_f32_32x32x8f16 a[96+0:111+0], v[vgprValuA_X2_I0+4+0+0:vgprValuA_X2_I0+4+0+0+1], v[vgprValuB_X2_I0+4+0+0:vgprValuB_X2_I0+4+0+0+1], a[96:111]
/*  mfmaIndex:38  */
/* sched write - iter 2 writesPerItem=1 */
s_waitcnt vmcnt(0)                                 // lgkmcnt=-1 vmcnt=0wait for global read before writing to local
_ds_store_b32 v[vgprLocalWriteAddrA], v[vgprG2LA+5] offset:1280 // lwoA_1_0_2_0 = (1*LSCA) + (2*LSPA)(*MT0I+PAD) = 1280
/* sched write - iter 2 writesPerItem=1 */
s_waitcnt vmcnt(0)                                 // lgkmcnt=-1 vmcnt=0wait for global read before writing to local
_ds_store_b32 v[vgprLocalWriteAddrA], v[vgprG2LA+6] offset:1536 // lwoA_0_0_3_0 = (0*LSCA) + (3*LSPA)(*MT0I+PAD) = 1536
v_mfma_f32_32x32x8f16 a[80+0:95+0], v[vgprValuA_X2_I0+2+0+0:vgprValuA_X2_I0+2+0+0+1], v[vgprValuB_X2_I0+4+0+0:vgprValuB_X2_I0+4+0+0+1], a[80:95]
/*  mfmaIndex:39  */
/* sched write - iter 2 writesPerItem=1 */
s_waitcnt vmcnt(0)                                 // lgkmcnt=-1 vmcnt=0wait for global read before writing to local
_ds_store_b32 v[vgprLocalWriteAddrA], v[vgprG2LA+7] offset:1792 // lwoA_1_0_3_0 = (1*LSCA) + (3*LSPA)(*MT0I+PAD) = 1792
v_mfma_f32_32x32x8f16 a[64+0:79+0], v[vgprValuA_X2_I0+0+0+0:vgprValuA_X2_I0+0+0+0+1], v[vgprValuB_X2_I0+4+0+0:vgprValuB_X2_I0+4+0+0+1], a[64:79]
/*  mfmaIndex:40  */
/* sched write - iter 2 writesPerItem=1 */
s_waitcnt vmcnt(0)                                 // lgkmcnt=-1 vmcnt=0wait for global read before writing to local
_ds_store_b32 v[vgprLocalWriteAddrA], v[vgprG2LA+8] offset:2048 // lwoA_0_0_4_0 = (0*LSCA) + (4*LSPA)(*MT0I+PAD) = 2048
/* sched write - iter 2 writesPerItem=1 */
s_waitcnt vmcnt(0)                                 // lgkmcnt=-1 vmcnt=0wait for global read before writing to local
_ds_store_b32 v[vgprLocalWriteAddrA], v[vgprG2LA+9] offset:2304 // lwoA_1_0_4_0 = (1*LSCA) + (4*LSPA)(*MT0I+PAD) = 2304
v_mfma_f32_32x32x8f16 a[128+0:143+0], v[vgprValuA_X2_I0+0+0+0:vgprValuA_X2_I0+0+0+0+1], v[vgprValuB_X2_I0+8+0+0:vgprValuB_X2_I0+8+0+0+1], a[128:143]
/*  mfmaIndex:41  */
/* sched write - iter 2 writesPerItem=1 */
s_waitcnt vmcnt(0)                                 // lgkmcnt=-1 vmcnt=0wait for global read before writing to local
_ds_store_b32 v[vgprLocalWriteAddrA], v[vgprG2LA+10] offset:2560 // lwoA_0_0_5_0 = (0*LSCA) + (5*LSPA)(*MT0I+PAD) = 2560
v_mfma_f32_32x32x8f16 a[144+0:159+0], v[vgprValuA_X2_I0+2+0+0:vgprValuA_X2_I0+2+0+0+1], v[vgprValuB_X2_I0+8+0+0:vgprValuB_X2_I0+8+0+0+1], a[144:159]
/*  mfmaIndex:42  */
/* sched write - iter 2 writesPerItem=1 */
s_waitcnt vmcnt(0)                                 // lgkmcnt=-1 vmcnt=0wait for global read before writing to local
_ds_store_b32 v[vgprLocalWriteAddrA], v[vgprG2LA+11] offset:2816 // lwoA_1_0_5_0 = (1*LSCA) + (5*LSPA)(*MT0I+PAD) = 2816
/* sched write - iter 2 writesPerItem=1 */
s_waitcnt vmcnt(0)                                 // lgkmcnt=-1 vmcnt=0wait for global read before writing to local
_ds_store_b32 v[vgprLocalWriteAddrA], v[vgprG2LA+12] offset:3072 // lwoA_0_0_6_0 = (0*LSCA) + (6*LSPA)(*MT0I+PAD) = 3072
v_mfma_f32_32x32x8f16 a[160+0:175+0], v[vgprValuA_X2_I0+4+0+0:vgprValuA_X2_I0+4+0+0+1], v[vgprValuB_X2_I0+8+0+0:vgprValuB_X2_I0+8+0+0+1], a[160:175]
/*  mfmaIndex:43  */
/* sched write - iter 2 writesPerItem=1 */
s_waitcnt vmcnt(0)                                 // lgkmcnt=-1 vmcnt=0wait for global read before writing to local
_ds_store_b32 v[vgprLocalWriteAddrA], v[vgprG2LA+13] offset:3328 // lwoA_1_0_6_0 = (1*LSCA) + (6*LSPA)(*MT0I+PAD) = 3328
/* sched write - iter 2 writesPerItem=1 */
s_waitcnt vmcnt(0)                                 // lgkmcnt=-1 vmcnt=0wait for global read before writing to local
_ds_store_b32 v[vgprLocalWriteAddrA], v[vgprG2LA+14] offset:3584 // lwoA_0_0_7_0 = (0*LSCA) + (7*LSPA)(*MT0I+PAD) = 3584
v_mfma_f32_32x32x8f16 a[176+0:191+0], v[vgprValuA_X2_I0+6+0+0:vgprValuA_X2_I0+6+0+0+1], v[vgprValuB_X2_I0+8+0+0:vgprValuB_X2_I0+8+0+0+1], a[176:191]
/*  mfmaIndex:44  */
/* sched write - iter 2 writesPerItem=1 */
s_waitcnt vmcnt(0)                                 // lgkmcnt=-1 vmcnt=0wait for global read before writing to local
_ds_store_b32 v[vgprLocalWriteAddrA], v[vgprG2LA+15] offset:3840 // lwoA_1_0_7_0 = (1*LSCA) + (7*LSPA)(*MT0I+PAD) = 3840
v_mfma_f32_32x32x8f16 a[240+0:255+0], v[vgprValuA_X2_I0+6+0+0:vgprValuA_X2_I0+6+0+0+1], v[vgprValuB_X2_I0+12+0+0:vgprValuB_X2_I0+12+0+0+1], a[240:255]
/*  mfmaIndex:45  */
/* sched write - iter 2 writesPerItem=1 */
s_waitcnt vmcnt(0)                                 // lgkmcnt=-1 vmcnt=0wait for global read before writing to local
_ds_store_b32 v[vgprLocalWriteAddrB], v[vgprG2LB+0] offset:0 // lwoB_0_0_0_0 = (0*LSCB)*(MT1J+PAD) + (0*LSPB) = 0
/* sched write - iter 2 writesPerItem=1 */
s_waitcnt vmcnt(0)                                 // lgkmcnt=-1 vmcnt=0wait for global read before writing to local
_ds_store_b32 v[vgprLocalWriteAddrB], v[vgprG2LB+1] offset:288 // lwoB_0_0_1_0 = (0*LSCB)*(MT1J+PAD) + (1*LSPB) = 288
v_mfma_f32_32x32x8f16 a[224+0:239+0], v[vgprValuA_X2_I0+4+0+0:vgprValuA_X2_I0+4+0+0+1], v[vgprValuB_X2_I0+12+0+0:vgprValuB_X2_I0+12+0+0+1], a[224:239]
/*  mfmaIndex:46  */
/* sched write - iter 2 writesPerItem=1 */
s_waitcnt vmcnt(0)                                 // lgkmcnt=-1 vmcnt=0wait for global read before writing to local
_ds_store_b32 v[vgprLocalWriteAddrB], v[vgprG2LB+2] offset:576 // lwoB_0_0_2_0 = (0*LSCB)*(MT1J+PAD) + (2*LSPB) = 576
v_mfma_f32_32x32x8f16 a[208+0:223+0], v[vgprValuA_X2_I0+2+0+0:vgprValuA_X2_I0+2+0+0+1], v[vgprValuB_X2_I0+12+0+0:vgprValuB_X2_I0+12+0+0+1], a[208:223]
/*  mfmaIndex:47  */
/* sched write - iter 2 writesPerItem=1 */
s_waitcnt vmcnt(0)                                 // lgkmcnt=-1 vmcnt=0wait for global read before writing to local
_ds_store_b32 v[vgprLocalWriteAddrB], v[vgprG2LB+3] offset:864 // lwoB_0_0_3_0 = (0*LSCB)*(MT1J+PAD) + (3*LSPB) = 864
/* sched write - iter 2 writesPerItem=1 */
s_waitcnt vmcnt(0)                                 // lgkmcnt=-1 vmcnt=0wait for global read before writing to local
_ds_store_b32 v[vgprLocalWriteAddrB], v[vgprG2LB+4] offset:1152 // lwoB_0_0_4_0 = (0*LSCB)*(MT1J+PAD) + (4*LSPB) = 1152

/* local read swap offsets a */

/* local read swap offsets b */

/* local read init pointers a */

/* localReadInitPointers */

/* local read init pointers b */

/* localReadInitPointers */
v_mfma_f32_32x32x8f16 a[192+0:207+0], v[vgprValuA_X2_I0+0+0+0:vgprValuA_X2_I0+0+0+0+1], v[vgprValuB_X2_I0+12+0+0:vgprValuB_X2_I0+12+0+0+1], a[192:207]
/* numPrefetchIter=0 */
/* dataAtIterA=1 numReadsIterA=3 skipReadsIterA=1 readsPerIterA=16 */
/* dataAtIterB=0 numReadsIterB=1 skipReadsIterB=0 readsPerIterB=4 */


/* iter 3 (swap and reset local write pointers iteration)  */

/*  grEndMfmaIndex:31, lwStartMfmaIndex:35, lwEndMfmaIndex:55  */
/*  numMfmaForLR:6, barrierMfmaIndex:57 */
/*  mfmaIndex:48  */
/* sched write - iter 3 writesPerItem=1 */
s_waitcnt vmcnt(0)                                 // lgkmcnt=-1 vmcnt=0wait for global read before writing to local
_ds_store_b32 v[vgprLocalWriteAddrB], v[vgprG2LB+5] offset:1440 // lwoB_0_0_5_0 = (0*LSCB)*(MT1J+PAD) + (5*LSPB) = 1440
/* pack scheduling: packAIdx:2, packBIdx:0 */
v_or_b32 v[vgprValuA_X3_I0+0], v[vgprValuA_X3_I0+0], v111 // pack two half Vgpr to one Vgpr
v_or_b32 v[vgprValuA_X3_I0+1], v[vgprValuA_X3_I0+1], v112 // pack two half Vgpr to one Vgpr
	;; [unrolled: 1-line block ×4, first 2 shown]
v_mfma_f32_32x32x8f16 a[0+0:15+0], v[vgprValuA_X3_I0+0+0+0:vgprValuA_X3_I0+0+0+0+1], v[vgprValuB_X2_I0+0+2+0:vgprValuB_X2_I0+0+2+0+1], a[0:15]
/*  mfmaIndex:49  */
/* sched write - iter 3 writesPerItem=1 */
s_waitcnt vmcnt(0)                                 // lgkmcnt=-1 vmcnt=0wait for global read before writing to local
_ds_store_b32 v[vgprLocalWriteAddrB], v[vgprG2LB+6] offset:1728 // lwoB_0_0_6_0 = (0*LSCB)*(MT1J+PAD) + (6*LSPB) = 1728
/* sched write - iter 3 writesPerItem=1 */
s_waitcnt vmcnt(0)                                 // lgkmcnt=-1 vmcnt=0wait for global read before writing to local
_ds_store_b32 v[vgprLocalWriteAddrB], v[vgprG2LB+7] offset:2016 // lwoB_0_0_7_0 = (0*LSCB)*(MT1J+PAD) + (7*LSPB) = 2016
/* pack scheduling: packAIdx:4, packBIdx:0 */
v_or_b32 v[vgprValuA_X3_I0+4], v[vgprValuA_X3_I0+4], v115 // pack two half Vgpr to one Vgpr
v_or_b32 v[vgprValuA_X3_I0+5], v[vgprValuA_X3_I0+5], v116 // pack two half Vgpr to one Vgpr
	;; [unrolled: 1-line block ×4, first 2 shown]
v_mfma_f32_32x32x8f16 a[16+0:31+0], v[vgprValuA_X3_I0+2+0+0:vgprValuA_X3_I0+2+0+0+1], v[vgprValuB_X2_I0+0+2+0:vgprValuB_X2_I0+0+2+0+1], a[16:31]
/*  mfmaIndex:50  */
/* sched write - iter 3 writesPerItem=1 */
s_waitcnt vmcnt(0)                                 // lgkmcnt=-1 vmcnt=0wait for global read before writing to local
_ds_store_b32 v[vgprLocalWriteAddrB], v[vgprG2LB+8] offset:2304 // lwoB_0_0_8_0 = (0*LSCB)*(MT1J+PAD) + (8*LSPB) = 2304
v_mfma_f32_32x32x8f16 a[32+0:47+0], v[vgprValuA_X3_I0+4+0+0:vgprValuA_X3_I0+4+0+0+1], v[vgprValuB_X2_I0+0+2+0:vgprValuB_X2_I0+0+2+0+1], a[32:47]
/*  mfmaIndex:51  */
/* sched write - iter 3 writesPerItem=1 */
s_waitcnt vmcnt(0)                                 // lgkmcnt=-1 vmcnt=0wait for global read before writing to local
_ds_store_b32 v[vgprLocalWriteAddrB], v[vgprG2LB+9] offset:2592 // lwoB_0_0_9_0 = (0*LSCB)*(MT1J+PAD) + (9*LSPB) = 2592
/* sched write - iter 3 writesPerItem=1 */
s_waitcnt vmcnt(0)                                 // lgkmcnt=-1 vmcnt=0wait for global read before writing to local
_ds_store_b32 v[vgprLocalWriteAddrB], v[vgprG2LB+10] offset:2880 // lwoB_0_0_10_0 = (0*LSCB)*(MT1J+PAD) + (10*LSPB) = 2880
v_mfma_f32_32x32x8f16 a[48+0:63+0], v[vgprValuA_X3_I0+6+0+0:vgprValuA_X3_I0+6+0+0+1], v[vgprValuB_X2_I0+0+2+0:vgprValuB_X2_I0+0+2+0+1], a[48:63]
/*  mfmaIndex:52  */
/* sched write - iter 3 writesPerItem=1 */
s_waitcnt vmcnt(0)                                 // lgkmcnt=-1 vmcnt=0wait for global read before writing to local
_ds_store_b32 v[vgprLocalWriteAddrB], v[vgprG2LB+11] offset:3168 // lwoB_0_0_11_0 = (0*LSCB)*(MT1J+PAD) + (11*LSPB) = 3168
/* sched write - iter 3 writesPerItem=1 */
s_waitcnt vmcnt(0)                                 // lgkmcnt=-1 vmcnt=0wait for global read before writing to local
_ds_store_b32 v[vgprLocalWriteAddrB], v[vgprG2LB+12] offset:3456 // lwoB_0_0_12_0 = (0*LSCB)*(MT1J+PAD) + (12*LSPB) = 3456
v_mfma_f32_32x32x8f16 a[112+0:127+0], v[vgprValuA_X3_I0+6+0+0:vgprValuA_X3_I0+6+0+0+1], v[vgprValuB_X2_I0+4+2+0:vgprValuB_X2_I0+4+2+0+1], a[112:127]
/*  mfmaIndex:53  */
/* sched write - iter 3 writesPerItem=1 */
s_waitcnt vmcnt(0)                                 // lgkmcnt=-1 vmcnt=0wait for global read before writing to local
_ds_store_b32 v[vgprLocalWriteAddrB], v[vgprG2LB+13] offset:3744 // lwoB_0_0_13_0 = (0*LSCB)*(MT1J+PAD) + (13*LSPB) = 3744
v_mfma_f32_32x32x8f16 a[96+0:111+0], v[vgprValuA_X3_I0+4+0+0:vgprValuA_X3_I0+4+0+0+1], v[vgprValuB_X2_I0+4+2+0:vgprValuB_X2_I0+4+2+0+1], a[96:111]
/*  mfmaIndex:54  */
/* sched write - iter 3 writesPerItem=1 */
s_waitcnt vmcnt(0)                                 // lgkmcnt=-1 vmcnt=0wait for global read before writing to local
_ds_store_b32 v[vgprLocalWriteAddrB], v[vgprG2LB+14] offset:4032 // lwoB_0_0_14_0 = (0*LSCB)*(MT1J+PAD) + (14*LSPB) = 4032
/* sched write - iter 3 writesPerItem=1 */
s_waitcnt vmcnt(0)                                 // lgkmcnt=-1 vmcnt=0wait for global read before writing to local
_ds_store_b32 v[vgprLocalWriteAddrB], v[vgprG2LB+15] offset:4320 // lwoB_0_0_15_0 = (0*LSCB)*(MT1J+PAD) + (15*LSPB) = 4320
v_mfma_f32_32x32x8f16 a[80+0:95+0], v[vgprValuA_X3_I0+2+0+0:vgprValuA_X3_I0+2+0+0+1], v[vgprValuB_X2_I0+4+2+0:vgprValuB_X2_I0+4+2+0+1], a[80:95]
/*  mfmaIndex:55  */

/* local write swap offsets a */

/* local write swap offsets b */
v_mfma_f32_32x32x8f16 a[64+0:79+0], v[vgprValuA_X3_I0+0+0+0:vgprValuA_X3_I0+0+0+0+1], v[vgprValuB_X2_I0+4+2+0:vgprValuB_X2_I0+4+2+0+1], a[64:79]
/*  mfmaIndex:56  */
v_mfma_f32_32x32x8f16 a[128+0:143+0], v[vgprValuA_X3_I0+0+0+0:vgprValuA_X3_I0+0+0+0+1], v[vgprValuB_X2_I0+8+2+0:vgprValuB_X2_I0+8+2+0+1], a[128:143]
/*  mfmaIndex:57  */
s_waitcnt lgkmcnt(0)                               // lgkmcnt=0 vmcnt=-13wait for local write
s_waitcnt lgkmcnt(0) & vmcnt(0)                    // force waitcnt0
s_barrier //
v_mfma_f32_32x32x8f16 a[144+0:159+0], v[vgprValuA_X3_I0+2+0+0:vgprValuA_X3_I0+2+0+0+1], v[vgprValuB_X2_I0+8+2+0:vgprValuB_X2_I0+8+2+0+1], a[144:159]
/*  mfmaIndex:58  */
_ds_load_u16 v[vgprValuA_X0_I0+0], v[vgprLocalReadAddrA] offset:0 // L -> Reg lro=0 swapByteOffset=0 ti=128 vIdx=0 rIdx=0 oIdx=0 buffer=0 iui=0
_ds_load_u16_d16_hi v103, v[vgprLocalReadAddrA] offset:512 // L -> Reg lro=0 swapByteOffset=0 ti=128 vIdx=0 rIdx=1 oIdx=0 buffer=0 iui=0
_ds_load_u16 v[vgprValuA_X0_I0+1], v[vgprLocalReadAddrA] offset:1024 // L -> Reg lro=0 swapByteOffset=0 ti=128 vIdx=0 rIdx=2 oIdx=0 buffer=0 iui=0
_ds_load_u16_d16_hi v104, v[vgprLocalReadAddrA] offset:1536 // L -> Reg lro=0 swapByteOffset=0 ti=128 vIdx=0 rIdx=3 oIdx=0 buffer=0 iui=0
_ds_load_b128 v[vgprValuB_X0_I0+0:vgprValuB_X0_I0+0+3], v[vgprLocalReadAddrB] offset:0 // L -> Reg lro=0 swapByteOffset=0 ti=128 vIdx=0 rIdx=0 oIdx=0 buffer=0 iui=0
v_mfma_f32_32x32x8f16 a[160+0:175+0], v[vgprValuA_X3_I0+4+0+0:vgprValuA_X3_I0+4+0+0+1], v[vgprValuB_X2_I0+8+2+0:vgprValuB_X2_I0+8+2+0+1], a[160:175]
/*  mfmaIndex:59  */
_ds_load_u16 v[vgprValuA_X0_I0+2], v[vgprLocalReadAddrA] offset:2 // L -> Reg lro=0 swapByteOffset=0 ti=128 vIdx=0 rIdx=0 oIdx=0 buffer=0 iui=0
_ds_load_u16_d16_hi v105, v[vgprLocalReadAddrA] offset:514 // L -> Reg lro=0 swapByteOffset=0 ti=128 vIdx=0 rIdx=1 oIdx=0 buffer=0 iui=0
_ds_load_u16 v[vgprValuA_X0_I0+3], v[vgprLocalReadAddrA] offset:1026 // L -> Reg lro=0 swapByteOffset=0 ti=128 vIdx=0 rIdx=2 oIdx=0 buffer=0 iui=0
_ds_load_u16_d16_hi v106, v[vgprLocalReadAddrA] offset:1538 // L -> Reg lro=0 swapByteOffset=0 ti=128 vIdx=0 rIdx=3 oIdx=0 buffer=0 iui=0
	;; [unrolled: 2-line block ×3, first 2 shown]
v_mfma_f32_32x32x8f16 a[176+0:191+0], v[vgprValuA_X3_I0+6+0+0:vgprValuA_X3_I0+6+0+0+1], v[vgprValuB_X2_I0+8+2+0:vgprValuB_X2_I0+8+2+0+1], a[176:191]
/*  mfmaIndex:60  */
_ds_load_u16 v[vgprValuA_X0_I0+5], v[vgprLocalReadAddrA] offset:1280 // L -> Reg lro=0 swapByteOffset=0 ti=128 vIdx=1 rIdx=2 oIdx=0 buffer=0 iui=0
_ds_load_u16_d16_hi v108, v[vgprLocalReadAddrA] offset:1792 // L -> Reg lro=0 swapByteOffset=0 ti=128 vIdx=1 rIdx=3 oIdx=0 buffer=0 iui=0
_ds_load_u16 v[vgprValuA_X0_I0+6], v[vgprLocalReadAddrA] offset:258 // L -> Reg lro=0 swapByteOffset=0 ti=128 vIdx=1 rIdx=0 oIdx=0 buffer=0 iui=0
_ds_load_u16_d16_hi v109, v[vgprLocalReadAddrA] offset:770 // L -> Reg lro=0 swapByteOffset=0 ti=128 vIdx=1 rIdx=1 oIdx=0 buffer=0 iui=0
	;; [unrolled: 2-line block ×3, first 2 shown]
v_mfma_f32_32x32x8f16 a[240+0:255+0], v[vgprValuA_X3_I0+6+0+0:vgprValuA_X3_I0+6+0+0+1], v[vgprValuB_X2_I0+12+2+0:vgprValuB_X2_I0+12+2+0+1], a[240:255]
/*  mfmaIndex:61  */
_ds_load_b128 v[vgprValuB_X0_I0+4:vgprValuB_X0_I0+4+3], v[vgprLocalReadAddrB] offset:64 // L -> Reg lro=0 swapByteOffset=0 ti=128 vIdx=0 rIdx=0 oIdx=0 buffer=0 iui=0
_ds_load_b128 v[vgprValuB_X0_I0+8:vgprValuB_X0_I0+8+3], v[vgprLocalReadAddrB] offset:9216 // L -> Reg lro=0 swapByteOffset=0 ti=128 vIdx=1 rIdx=0 oIdx=0 buffer=0 iui=0
	;; [unrolled: 1-line block ×3, first 2 shown]
v_mfma_f32_32x32x8f16 a[224+0:239+0], v[vgprValuA_X3_I0+4+0+0:vgprValuA_X3_I0+4+0+0+1], v[vgprValuB_X2_I0+12+2+0:vgprValuB_X2_I0+12+2+0+1], a[224:239]
/*  mfmaIndex:62  */
v_mfma_f32_32x32x8f16 a[208+0:223+0], v[vgprValuA_X3_I0+2+0+0:vgprValuA_X3_I0+2+0+0+1], v[vgprValuB_X2_I0+12+2+0:vgprValuB_X2_I0+12+2+0+1], a[208:223]
/*  mfmaIndex:63  */
v_mfma_f32_32x32x8f16 a[192+0:207+0], v[vgprValuA_X3_I0+0+0+0:vgprValuA_X3_I0+0+0+0+1], v[vgprValuB_X2_I0+12+2+0:vgprValuB_X2_I0+12+2+0+1], a[192:207]


/******************************************/
/* Unrolled Loop - End 1/2                */
/******************************************/


/* closeLoop loopL finalLoop=0 tailLoop=0 */
s_sub_u32 s[sgprLoopCounterL], s[sgprLoopCounterL], 1 // dec counterL
s_cmp_eq_i32 s[sgprLoopCounterL], 0x1              // counterL==1
s_cbranch_scc1 LoopEndL_oddexit_3                  // exit LoopL


/******************************************/
/* Unrolled Loop 2/2 - Begin              */
/******************************************/

label_0014: // LoopCopy2 


/* Begin Each Unroll: Check VGPR.checkin for INT8 LW */


	;; [unrolled: 1-line block ×3, first 2 shown]
/* iter 0 */

/*  grEndMfmaIndex:31, lwStartMfmaIndex:35, lwEndMfmaIndex:55  */
/*  numMfmaForLR:6, barrierMfmaIndex:57 */
/*  mfmaIndex:0  */
_buffer_load_b32 v[vgprG2LA+0], v[vgprGlobalReadOffsetA+0], s[sgprSrdA:sgprSrdA+3], 0, offen offset:0 // G -> Reg 0_0_0_0
s_waitcnt lgkmcnt(0)                               // lgkmcnt=0 vmcnt=-1wait for prior local read local write old=0, new=0 newLW=0 newLR=0
/* pack scheduling: packAIdx:2, packBIdx:0 */
v_or_b32 v[vgprValuA_X0_I0+0], v[vgprValuA_X0_I0+0], v103 // pack two half Vgpr to one Vgpr
v_or_b32 v[vgprValuA_X0_I0+1], v[vgprValuA_X0_I0+1], v104 // pack two half Vgpr to one Vgpr
v_or_b32 v[vgprValuA_X0_I0+2], v[vgprValuA_X0_I0+2], v105 // pack two half Vgpr to one Vgpr
v_or_b32 v[vgprValuA_X0_I0+3], v[vgprValuA_X0_I0+3], v106 // pack two half Vgpr to one Vgpr
v_mfma_f32_32x32x8f16 a[0+0:15+0], v[vgprValuA_X0_I0+0+0+0:vgprValuA_X0_I0+0+0+0+1], v[vgprValuB_X0_I0+0+0+0:vgprValuB_X0_I0+0+0+0+1], a[0:15]
/*  mfmaIndex:1  */
_ds_load_u16 v[vgprValuA_X1_I0+0], v[vgprLocalReadAddrA] offset:2048 // L -> Reg lro=1024 swapByteOffset=0 ti=128 vIdx=0 rIdx=0 oIdx=0 buffer=1 iui=0
_ds_load_u16_d16_hi v111, v[vgprLocalReadAddrA] offset:2560 // L -> Reg lro=1024 swapByteOffset=0 ti=128 vIdx=0 rIdx=1 oIdx=0 buffer=1 iui=0
_ds_load_u16 v[vgprValuA_X1_I0+1], v[vgprLocalReadAddrA] offset:3072 // L -> Reg lro=1024 swapByteOffset=0 ti=128 vIdx=0 rIdx=2 oIdx=0 buffer=1 iui=0
_ds_load_u16_d16_hi v112, v[vgprLocalReadAddrA] offset:3584 // L -> Reg lro=1024 swapByteOffset=0 ti=128 vIdx=0 rIdx=3 oIdx=0 buffer=1 iui=0
_ds_load_b128 v[vgprValuB_X2_I0+0:vgprValuB_X2_I0+0+3], v[vgprLocalReadAddrB] offset:32 // L -> Reg lro=16 swapByteOffset=0 ti=128 vIdx=0 rIdx=0 oIdx=0 buffer=2 iui=0
_buffer_load_b32 v[vgprG2LA+1], v[vgprGlobalReadOffsetA+0], s[sgprSrdA:sgprSrdA+3], s[sgprScalarGlobalReadOffsetA+0], offen offset:0 // G -> Reg 1_0_0_0
/* pack scheduling: packAIdx:4, packBIdx:0 */
v_or_b32 v[vgprValuA_X0_I0+4], v[vgprValuA_X0_I0+4], v107 // pack two half Vgpr to one Vgpr
v_or_b32 v[vgprValuA_X0_I0+5], v[vgprValuA_X0_I0+5], v108 // pack two half Vgpr to one Vgpr
	;; [unrolled: 1-line block ×4, first 2 shown]
v_mfma_f32_32x32x8f16 a[16+0:31+0], v[vgprValuA_X0_I0+2+0+0:vgprValuA_X0_I0+2+0+0+1], v[vgprValuB_X0_I0+0+0+0:vgprValuB_X0_I0+0+0+0+1], a[16:31]
/*  mfmaIndex:2  */
_ds_load_u16 v[vgprValuA_X1_I0+2], v[vgprLocalReadAddrA] offset:2050 // L -> Reg lro=1024 swapByteOffset=0 ti=128 vIdx=0 rIdx=0 oIdx=0 buffer=1 iui=0
_ds_load_u16_d16_hi v113, v[vgprLocalReadAddrA] offset:2562 // L -> Reg lro=1024 swapByteOffset=0 ti=128 vIdx=0 rIdx=1 oIdx=0 buffer=1 iui=0
_ds_load_u16 v[vgprValuA_X1_I0+3], v[vgprLocalReadAddrA] offset:3074 // L -> Reg lro=1024 swapByteOffset=0 ti=128 vIdx=0 rIdx=2 oIdx=0 buffer=1 iui=0
_ds_load_u16_d16_hi v114, v[vgprLocalReadAddrA] offset:3586 // L -> Reg lro=1024 swapByteOffset=0 ti=128 vIdx=0 rIdx=3 oIdx=0 buffer=1 iui=0
	;; [unrolled: 2-line block ×3, first 2 shown]
_buffer_load_b32 v[vgprG2LA+2], v[vgprGlobalReadOffsetA+0], s[sgprSrdA:sgprSrdA+3], s[sgprScalarGlobalReadOffsetA+1], offen offset:0 // G -> Reg 0_0_1_0
v_mfma_f32_32x32x8f16 a[32+0:47+0], v[vgprValuA_X0_I0+4+0+0:vgprValuA_X0_I0+4+0+0+1], v[vgprValuB_X0_I0+0+0+0:vgprValuB_X0_I0+0+0+0+1], a[32:47]
/*  mfmaIndex:3  */
_ds_load_u16 v[vgprValuA_X1_I0+5], v[vgprLocalReadAddrA] offset:3328 // L -> Reg lro=1024 swapByteOffset=0 ti=128 vIdx=1 rIdx=2 oIdx=0 buffer=1 iui=0
_ds_load_u16_d16_hi v116, v[vgprLocalReadAddrA] offset:3840 // L -> Reg lro=1024 swapByteOffset=0 ti=128 vIdx=1 rIdx=3 oIdx=0 buffer=1 iui=0
_ds_load_u16 v[vgprValuA_X1_I0+6], v[vgprLocalReadAddrA] offset:2306 // L -> Reg lro=1024 swapByteOffset=0 ti=128 vIdx=1 rIdx=0 oIdx=0 buffer=1 iui=0
_ds_load_u16_d16_hi v117, v[vgprLocalReadAddrA] offset:2818 // L -> Reg lro=1024 swapByteOffset=0 ti=128 vIdx=1 rIdx=1 oIdx=0 buffer=1 iui=0
	;; [unrolled: 2-line block ×3, first 2 shown]
_buffer_load_b32 v[vgprG2LA+3], v[vgprGlobalReadOffsetA+0], s[sgprSrdA:sgprSrdA+3], s[sgprScalarGlobalReadOffsetA+2], offen offset:0 // G -> Reg 1_0_1_0
v_mfma_f32_32x32x8f16 a[48+0:63+0], v[vgprValuA_X0_I0+6+0+0:vgprValuA_X0_I0+6+0+0+1], v[vgprValuB_X0_I0+0+0+0:vgprValuB_X0_I0+0+0+0+1], a[48:63]
/*  mfmaIndex:4  */
_ds_load_b128 v[vgprValuB_X2_I0+4:vgprValuB_X2_I0+4+3], v[vgprLocalReadAddrB] offset:96 // L -> Reg lro=16 swapByteOffset=0 ti=128 vIdx=0 rIdx=0 oIdx=0 buffer=2 iui=0
_ds_load_b128 v[vgprValuB_X2_I0+8:vgprValuB_X2_I0+8+3], v[vgprLocalReadAddrB] offset:9248 // L -> Reg lro=16 swapByteOffset=0 ti=128 vIdx=1 rIdx=0 oIdx=0 buffer=2 iui=0
	;; [unrolled: 1-line block ×3, first 2 shown]
/* localReadsVacancy: latencyLeft 1 */
_buffer_load_b32 v[vgprG2LA+4], v[vgprGlobalReadOffsetA+0], s[sgprSrdA:sgprSrdA+3], s[sgprScalarGlobalReadOffsetA+3], offen offset:0 // G -> Reg 0_0_2_0
v_mfma_f32_32x32x8f16 a[112+0:127+0], v[vgprValuA_X0_I0+6+0+0:vgprValuA_X0_I0+6+0+0+1], v[vgprValuB_X0_I0+4+0+0:vgprValuB_X0_I0+4+0+0+1], a[112:127]
/*  mfmaIndex:5  */
/* localReadsVacancy: latencyLeft 13 */
_ds_load_u16 v[vgprValuA_X2_I0+0], v[vgprLocalReadAddrA] offset:8192 // L -> Reg lro=4096 swapByteOffset=0 ti=128 vIdx=0 rIdx=0 oIdx=0 buffer=2 iui=0
_ds_load_u16 v[vgprValuA_X2_I0+1], v[vgprLocalReadAddrA] offset:9216 // L -> Reg lro=4096 swapByteOffset=0 ti=128 vIdx=0 rIdx=2 oIdx=0 buffer=2 iui=0
	;; [unrolled: 1-line block ×6, first 2 shown]
_buffer_load_b32 v[vgprG2LA+5], v[vgprGlobalReadOffsetA+0], s[sgprSrdA:sgprSrdA+3], s[sgprScalarGlobalReadOffsetA+4], offen offset:0 // G -> Reg 1_0_2_0
v_mfma_f32_32x32x8f16 a[96+0:111+0], v[vgprValuA_X0_I0+4+0+0:vgprValuA_X0_I0+4+0+0+1], v[vgprValuB_X0_I0+4+0+0:vgprValuB_X0_I0+4+0+0+1], a[96:111]
/*  mfmaIndex:6  */
/* localReadsVacancy: latencyLeft 13 */
_ds_load_u16 v[vgprValuA_X2_I0+6], v[vgprLocalReadAddrA] offset:8450 // L -> Reg lro=4096 swapByteOffset=0 ti=128 vIdx=1 rIdx=0 oIdx=0 buffer=2 iui=0
_ds_load_u16 v[vgprValuA_X2_I0+7], v[vgprLocalReadAddrA] offset:9474 // L -> Reg lro=4096 swapByteOffset=0 ti=128 vIdx=1 rIdx=2 oIdx=0 buffer=2 iui=0
_ds_load_u16 v[vgprValuA_X3_I0+0], v[vgprLocalReadAddrA] offset:10240 // L -> Reg lro=5120 swapByteOffset=0 ti=128 vIdx=0 rIdx=0 oIdx=0 buffer=3 iui=0
_ds_load_u16 v[vgprValuA_X3_I0+1], v[vgprLocalReadAddrA] offset:11264 // L -> Reg lro=5120 swapByteOffset=0 ti=128 vIdx=0 rIdx=2 oIdx=0 buffer=3 iui=0
	;; [unrolled: 1-line block ×4, first 2 shown]
_buffer_load_b32 v[vgprG2LA+6], v[vgprGlobalReadOffsetA+0], s[sgprSrdA:sgprSrdA+3], s[sgprScalarGlobalReadOffsetA+5], offen offset:0 // G -> Reg 0_0_3_0
v_mfma_f32_32x32x8f16 a[80+0:95+0], v[vgprValuA_X0_I0+2+0+0:vgprValuA_X0_I0+2+0+0+1], v[vgprValuB_X0_I0+4+0+0:vgprValuB_X0_I0+4+0+0+1], a[80:95]
/*  mfmaIndex:7  */
/* localReadsVacancy: latencyLeft 13 */
_ds_load_u16 v[vgprValuA_X3_I0+4], v[vgprLocalReadAddrA] offset:10496 // L -> Reg lro=5120 swapByteOffset=0 ti=128 vIdx=1 rIdx=0 oIdx=0 buffer=3 iui=0
_ds_load_u16 v[vgprValuA_X3_I0+5], v[vgprLocalReadAddrA] offset:11520 // L -> Reg lro=5120 swapByteOffset=0 ti=128 vIdx=1 rIdx=2 oIdx=0 buffer=3 iui=0
	;; [unrolled: 1-line block ×4, first 2 shown]
_buffer_load_b32 v[vgprG2LA+7], v[vgprGlobalReadOffsetA+0], s[sgprSrdA:sgprSrdA+3], s[sgprScalarGlobalReadOffsetA+6], offen offset:0 // G -> Reg 1_0_3_0
v_mfma_f32_32x32x8f16 a[64+0:79+0], v[vgprValuA_X0_I0+0+0+0:vgprValuA_X0_I0+0+0+0+1], v[vgprValuB_X0_I0+4+0+0:vgprValuB_X0_I0+4+0+0+1], a[64:79]
/*  mfmaIndex:8  */
/* localReadsVacancy: latencyLeft 13 */
_buffer_load_b32 v[vgprG2LA+8], v[vgprGlobalReadOffsetA+0], s[sgprSrdA:sgprSrdA+3], s[sgprScalarGlobalReadOffsetA+7], offen offset:0 // G -> Reg 0_0_4_0
v_mfma_f32_32x32x8f16 a[128+0:143+0], v[vgprValuA_X0_I0+0+0+0:vgprValuA_X0_I0+0+0+0+1], v[vgprValuB_X0_I0+8+0+0:vgprValuB_X0_I0+8+0+0+1], a[128:143]
/*  mfmaIndex:9  */
/* localReadsVacancy: latencyLeft 13 */
_buffer_load_b32 v[vgprG2LA+9], v[vgprGlobalReadOffsetA+0], s[sgprSrdA:sgprSrdA+3], s[sgprScalarGlobalReadOffsetA+8], offen offset:0 // G -> Reg 1_0_4_0
v_mfma_f32_32x32x8f16 a[144+0:159+0], v[vgprValuA_X0_I0+2+0+0:vgprValuA_X0_I0+2+0+0+1], v[vgprValuB_X0_I0+8+0+0:vgprValuB_X0_I0+8+0+0+1], a[144:159]
/*  mfmaIndex:10  */
/* localReadsVacancy: latencyLeft 13 */
_buffer_load_b32 v[vgprG2LA+10], v[vgprGlobalReadOffsetA+0], s[sgprSrdA:sgprSrdA+3], s[sgprScalarGlobalReadOffsetA+9], offen offset:0 // G -> Reg 0_0_5_0
v_mfma_f32_32x32x8f16 a[160+0:175+0], v[vgprValuA_X0_I0+4+0+0:vgprValuA_X0_I0+4+0+0+1], v[vgprValuB_X0_I0+8+0+0:vgprValuB_X0_I0+8+0+0+1], a[160:175]
/*  mfmaIndex:11  */
/* localReadsVacancy: latencyLeft 13 */
_buffer_load_b32 v[vgprG2LA+11], v[vgprGlobalReadOffsetA+0], s[sgprSrdA:sgprSrdA+3], s[sgprScalarGlobalReadOffsetA+10], offen offset:0 // G -> Reg 1_0_5_0
v_mfma_f32_32x32x8f16 a[176+0:191+0], v[vgprValuA_X0_I0+6+0+0:vgprValuA_X0_I0+6+0+0+1], v[vgprValuB_X0_I0+8+0+0:vgprValuB_X0_I0+8+0+0+1], a[176:191]
/*  mfmaIndex:12  */
/* localReadsVacancy: latencyLeft 13 */
_buffer_load_b32 v[vgprG2LA+12], v[vgprGlobalReadOffsetA+0], s[sgprSrdA:sgprSrdA+3], s[sgprScalarGlobalReadOffsetA+11], offen offset:0 // G -> Reg 0_0_6_0
v_mfma_f32_32x32x8f16 a[240+0:255+0], v[vgprValuA_X0_I0+6+0+0:vgprValuA_X0_I0+6+0+0+1], v[vgprValuB_X0_I0+12+0+0:vgprValuB_X0_I0+12+0+0+1], a[240:255]
/*  mfmaIndex:13  */
/* localReadsVacancy: latencyLeft 13 */
_buffer_load_b32 v[vgprG2LA+13], v[vgprGlobalReadOffsetA+0], s[sgprSrdA:sgprSrdA+3], s[sgprScalarGlobalReadOffsetA+12], offen offset:0 // G -> Reg 1_0_6_0
v_mfma_f32_32x32x8f16 a[224+0:239+0], v[vgprValuA_X0_I0+4+0+0:vgprValuA_X0_I0+4+0+0+1], v[vgprValuB_X0_I0+12+0+0:vgprValuB_X0_I0+12+0+0+1], a[224:239]
/*  mfmaIndex:14  */
/* localReadsVacancy: latencyLeft 13 */
_buffer_load_b32 v[vgprG2LA+14], v[vgprGlobalReadOffsetA+0], s[sgprSrdA:sgprSrdA+3], s[sgprScalarGlobalReadOffsetA+13], offen offset:0 // G -> Reg 0_0_7_0
v_mfma_f32_32x32x8f16 a[208+0:223+0], v[vgprValuA_X0_I0+2+0+0:vgprValuA_X0_I0+2+0+0+1], v[vgprValuB_X0_I0+12+0+0:vgprValuB_X0_I0+12+0+0+1], a[208:223]
/*  mfmaIndex:15  */
/* localReadsVacancy: latencyLeft 13 */
_buffer_load_b32 v[vgprG2LA+15], v[vgprGlobalReadOffsetA+0], s[sgprSrdA:sgprSrdA+3], s[sgprScalarGlobalReadOffsetA+14], offen offset:0 // G -> Reg 1_0_7_0
v_mfma_f32_32x32x8f16 a[192+0:207+0], v[vgprValuA_X0_I0+0+0+0:vgprValuA_X0_I0+0+0+0+1], v[vgprValuB_X0_I0+12+0+0:vgprValuB_X0_I0+12+0+0+1], a[192:207]
/* numPrefetchIter=0 */
/* dataAtIterA=-1 numReadsIterA=1 skipReadsIterA=1 readsPerIterA=16 */
/* dataAtIterB=-1 numReadsIterB=1 skipReadsIterB=1 readsPerIterB=4 */


/* iter 1 */

/*  grEndMfmaIndex:31, lwStartMfmaIndex:35, lwEndMfmaIndex:55  */
/*  numMfmaForLR:6, barrierMfmaIndex:57 */
/*  mfmaIndex:16  */
_ds_load_u16_d16_hi v103, v[vgprLocalReadAddrA] offset:8704 // L -> Reg lro=4096 swapByteOffset=0 ti=128 vIdx=0 rIdx=1 oIdx=0 buffer=2 iui=0
_ds_load_u16_d16_hi v104, v[vgprLocalReadAddrA] offset:9728 // L -> Reg lro=4096 swapByteOffset=0 ti=128 vIdx=0 rIdx=3 oIdx=0 buffer=2 iui=0
	;; [unrolled: 1-line block ×6, first 2 shown]
_buffer_load_b32 v[vgprG2LB+0], v[vgprGlobalReadOffsetB+0], s[sgprSrdB:sgprSrdB+3], 0, offen offset:0 // G -> Reg 0_0_0_0
s_waitcnt lgkmcnt(15)                              // lgkmcnt=0 vmcnt=-1wait for prior local read local write old=8, new=14 newLW=0 newLR=6
/* pack scheduling: packAIdx:2, packBIdx:0 */
v_or_b32 v[vgprValuA_X1_I0+0], v[vgprValuA_X1_I0+0], v111 // pack two half Vgpr to one Vgpr
v_or_b32 v[vgprValuA_X1_I0+1], v[vgprValuA_X1_I0+1], v112 // pack two half Vgpr to one Vgpr
	;; [unrolled: 1-line block ×4, first 2 shown]
v_mfma_f32_32x32x8f16 a[0+0:15+0], v[vgprValuA_X1_I0+0+0+0:vgprValuA_X1_I0+0+0+0+1], v[vgprValuB_X0_I0+0+2+0:vgprValuB_X0_I0+0+2+0+1], a[0:15]
/*  mfmaIndex:17  */
_ds_load_u16_d16_hi v109, v[vgprLocalReadAddrA] offset:8962 // L -> Reg lro=4096 swapByteOffset=0 ti=128 vIdx=1 rIdx=1 oIdx=0 buffer=2 iui=0
_ds_load_u16_d16_hi v110, v[vgprLocalReadAddrA] offset:9986 // L -> Reg lro=4096 swapByteOffset=0 ti=128 vIdx=1 rIdx=3 oIdx=0 buffer=2 iui=0
/* localReadsVacancy: latencyLeft 9 */
_buffer_load_b32 v[vgprG2LB+1], v[vgprGlobalReadOffsetB+0], s[sgprSrdB:sgprSrdB+3], s[sgprScalarGlobalReadOffsetB+0], offen offset:0 // G -> Reg 0_0_1_0
/* pack scheduling: packAIdx:4, packBIdx:0 */
v_or_b32 v[vgprValuA_X1_I0+4], v[vgprValuA_X1_I0+4], v115 // pack two half Vgpr to one Vgpr
v_or_b32 v[vgprValuA_X1_I0+5], v[vgprValuA_X1_I0+5], v116 // pack two half Vgpr to one Vgpr
	;; [unrolled: 1-line block ×4, first 2 shown]
v_mfma_f32_32x32x8f16 a[16+0:31+0], v[vgprValuA_X1_I0+2+0+0:vgprValuA_X1_I0+2+0+0+1], v[vgprValuB_X0_I0+0+2+0:vgprValuB_X0_I0+0+2+0+1], a[16:31]
/*  mfmaIndex:18  */
/* localReadsVacancy: latencyLeft 13 */
_buffer_load_b32 v[vgprG2LB+2], v[vgprGlobalReadOffsetB+0], s[sgprSrdB:sgprSrdB+3], s[sgprScalarGlobalReadOffsetB+1], offen offset:0 // G -> Reg 0_0_2_0
v_mfma_f32_32x32x8f16 a[32+0:47+0], v[vgprValuA_X1_I0+4+0+0:vgprValuA_X1_I0+4+0+0+1], v[vgprValuB_X0_I0+0+2+0:vgprValuB_X0_I0+0+2+0+1], a[32:47]
/*  mfmaIndex:19  */
/* localReadsVacancy: latencyLeft 13 */
_buffer_load_b32 v[vgprG2LB+3], v[vgprGlobalReadOffsetB+0], s[sgprSrdB:sgprSrdB+3], s[sgprScalarGlobalReadOffsetB+2], offen offset:0 // G -> Reg 0_0_3_0
v_mfma_f32_32x32x8f16 a[48+0:63+0], v[vgprValuA_X1_I0+6+0+0:vgprValuA_X1_I0+6+0+0+1], v[vgprValuB_X0_I0+0+2+0:vgprValuB_X0_I0+0+2+0+1], a[48:63]
/*  mfmaIndex:20  */
/* localReadsVacancy: latencyLeft 13 */
_buffer_load_b32 v[vgprG2LB+4], v[vgprGlobalReadOffsetB+0], s[sgprSrdB:sgprSrdB+3], s[sgprScalarGlobalReadOffsetB+3], offen offset:0 // G -> Reg 0_0_4_0
v_mfma_f32_32x32x8f16 a[112+0:127+0], v[vgprValuA_X1_I0+6+0+0:vgprValuA_X1_I0+6+0+0+1], v[vgprValuB_X0_I0+4+2+0:vgprValuB_X0_I0+4+2+0+1], a[112:127]
/*  mfmaIndex:21  */
/* localReadsVacancy: latencyLeft 13 */
_buffer_load_b32 v[vgprG2LB+5], v[vgprGlobalReadOffsetB+0], s[sgprSrdB:sgprSrdB+3], s[sgprScalarGlobalReadOffsetB+4], offen offset:0 // G -> Reg 0_0_5_0
v_mfma_f32_32x32x8f16 a[96+0:111+0], v[vgprValuA_X1_I0+4+0+0:vgprValuA_X1_I0+4+0+0+1], v[vgprValuB_X0_I0+4+2+0:vgprValuB_X0_I0+4+2+0+1], a[96:111]
/*  mfmaIndex:22  */
/* localReadsVacancy: latencyLeft 13 */
_buffer_load_b32 v[vgprG2LB+6], v[vgprGlobalReadOffsetB+0], s[sgprSrdB:sgprSrdB+3], s[sgprScalarGlobalReadOffsetB+5], offen offset:0 // G -> Reg 0_0_6_0
v_mfma_f32_32x32x8f16 a[80+0:95+0], v[vgprValuA_X1_I0+2+0+0:vgprValuA_X1_I0+2+0+0+1], v[vgprValuB_X0_I0+4+2+0:vgprValuB_X0_I0+4+2+0+1], a[80:95]
/*  mfmaIndex:23  */
/* localReadsVacancy: latencyLeft 13 */
_buffer_load_b32 v[vgprG2LB+7], v[vgprGlobalReadOffsetB+0], s[sgprSrdB:sgprSrdB+3], s[sgprScalarGlobalReadOffsetB+6], offen offset:0 // G -> Reg 0_0_7_0
v_mfma_f32_32x32x8f16 a[64+0:79+0], v[vgprValuA_X1_I0+0+0+0:vgprValuA_X1_I0+0+0+0+1], v[vgprValuB_X0_I0+4+2+0:vgprValuB_X0_I0+4+2+0+1], a[64:79]
/*  mfmaIndex:24  */
/* localReadsVacancy: latencyLeft 13 */
_buffer_load_b32 v[vgprG2LB+8], v[vgprGlobalReadOffsetB+0], s[sgprSrdB:sgprSrdB+3], s[sgprScalarGlobalReadOffsetB+7], offen offset:0 // G -> Reg 0_0_8_0
v_mfma_f32_32x32x8f16 a[128+0:143+0], v[vgprValuA_X1_I0+0+0+0:vgprValuA_X1_I0+0+0+0+1], v[vgprValuB_X0_I0+8+2+0:vgprValuB_X0_I0+8+2+0+1], a[128:143]
/*  mfmaIndex:25  */
/* localReadsVacancy: latencyLeft 13 */
_buffer_load_b32 v[vgprG2LB+9], v[vgprGlobalReadOffsetB+0], s[sgprSrdB:sgprSrdB+3], s[sgprScalarGlobalReadOffsetB+8], offen offset:0 // G -> Reg 0_0_9_0
v_mfma_f32_32x32x8f16 a[144+0:159+0], v[vgprValuA_X1_I0+2+0+0:vgprValuA_X1_I0+2+0+0+1], v[vgprValuB_X0_I0+8+2+0:vgprValuB_X0_I0+8+2+0+1], a[144:159]
/*  mfmaIndex:26  */
/* localReadsVacancy: latencyLeft 13 */
_buffer_load_b32 v[vgprG2LB+10], v[vgprGlobalReadOffsetB+0], s[sgprSrdB:sgprSrdB+3], s[sgprScalarGlobalReadOffsetB+9], offen offset:0 // G -> Reg 0_0_10_0
v_mfma_f32_32x32x8f16 a[160+0:175+0], v[vgprValuA_X1_I0+4+0+0:vgprValuA_X1_I0+4+0+0+1], v[vgprValuB_X0_I0+8+2+0:vgprValuB_X0_I0+8+2+0+1], a[160:175]
/*  mfmaIndex:27  */
/* localReadsVacancy: latencyLeft 13 */
_buffer_load_b32 v[vgprG2LB+11], v[vgprGlobalReadOffsetB+0], s[sgprSrdB:sgprSrdB+3], s[sgprScalarGlobalReadOffsetB+10], offen offset:0 // G -> Reg 0_0_11_0
v_mfma_f32_32x32x8f16 a[176+0:191+0], v[vgprValuA_X1_I0+6+0+0:vgprValuA_X1_I0+6+0+0+1], v[vgprValuB_X0_I0+8+2+0:vgprValuB_X0_I0+8+2+0+1], a[176:191]
/*  mfmaIndex:28  */
/* localReadsVacancy: latencyLeft 13 */
_buffer_load_b32 v[vgprG2LB+12], v[vgprGlobalReadOffsetB+0], s[sgprSrdB:sgprSrdB+3], s[sgprScalarGlobalReadOffsetB+11], offen offset:0 // G -> Reg 0_0_12_0
v_mfma_f32_32x32x8f16 a[240+0:255+0], v[vgprValuA_X1_I0+6+0+0:vgprValuA_X1_I0+6+0+0+1], v[vgprValuB_X0_I0+12+2+0:vgprValuB_X0_I0+12+2+0+1], a[240:255]
/*  mfmaIndex:29  */
/* localReadsVacancy: latencyLeft 13 */
_buffer_load_b32 v[vgprG2LB+13], v[vgprGlobalReadOffsetB+0], s[sgprSrdB:sgprSrdB+3], s[sgprScalarGlobalReadOffsetB+12], offen offset:0 // G -> Reg 0_0_13_0
v_mfma_f32_32x32x8f16 a[224+0:239+0], v[vgprValuA_X1_I0+4+0+0:vgprValuA_X1_I0+4+0+0+1], v[vgprValuB_X0_I0+12+2+0:vgprValuB_X0_I0+12+2+0+1], a[224:239]
/*  mfmaIndex:30  */
/* localReadsVacancy: latencyLeft 13 */
_buffer_load_b32 v[vgprG2LB+14], v[vgprGlobalReadOffsetB+0], s[sgprSrdB:sgprSrdB+3], s[sgprScalarGlobalReadOffsetB+13], offen offset:0 // G -> Reg 0_0_14_0
v_mfma_f32_32x32x8f16 a[208+0:223+0], v[vgprValuA_X1_I0+2+0+0:vgprValuA_X1_I0+2+0+0+1], v[vgprValuB_X0_I0+12+2+0:vgprValuB_X0_I0+12+2+0+1], a[208:223]
/*  mfmaIndex:31  */
/* localReadsVacancy: latencyLeft 13 */
_buffer_load_b32 v[vgprG2LB+15], v[vgprGlobalReadOffsetB+0], s[sgprSrdB:sgprSrdB+3], s[sgprScalarGlobalReadOffsetB+14], offen offset:0 // G -> Reg 0_0_15_0
v_mfma_f32_32x32x8f16 a[192+0:207+0], v[vgprValuA_X1_I0+0+0+0:vgprValuA_X1_I0+0+0+0+1], v[vgprValuB_X0_I0+12+2+0:vgprValuB_X0_I0+12+2+0+1], a[192:207]
/* numPrefetchIter=0 */
/* dataAtIterA=0 numReadsIterA=2 skipReadsIterA=1 readsPerIterA=16 */
/* dataAtIterB=-1 numReadsIterB=1 skipReadsIterB=0 readsPerIterB=4 */


/* iter 2 (reset local read pointers iteration)  (swap local read pointers iteration)  */

/*  grEndMfmaIndex:31, lwStartMfmaIndex:35, lwEndMfmaIndex:55  */
/*  numMfmaForLR:6, barrierMfmaIndex:57 */
/*  mfmaIndex:32  */
_ds_load_u16_d16_hi v111, v[vgprLocalReadAddrA] offset:10752 // L -> Reg lro=5120 swapByteOffset=0 ti=128 vIdx=0 rIdx=1 oIdx=0 buffer=3 iui=0
_ds_load_u16_d16_hi v112, v[vgprLocalReadAddrA] offset:11776 // L -> Reg lro=5120 swapByteOffset=0 ti=128 vIdx=0 rIdx=3 oIdx=0 buffer=3 iui=0
	;; [unrolled: 1-line block ×6, first 2 shown]

/* global read inc A loopL */
s_add_u32 s[sgprSrdA+0], s[sgprSrdA+0], s[sgprGlobalReadIncsA+0] // gra SRD += inc(lower)
s_addc_u32  s[sgprSrdA+1], s[sgprSrdA+1], 0        // gra SRD += inc(upper)
s_sub_u32 s[sgprShadowLimitA+0], s[sgprShadowLimitA+0], s[sgprGlobalReadIncsA+0] // limit -= inc)
s_subb_u32 s[sgprShadowLimitA+1], s[sgprShadowLimitA+1], 0 // limit -= inc)
s_cmp_eq_u32 s[sgprShadowLimitA+1], 0              // are we within 2^32?
s_cmov_b32 s[sgprSrdA+2], s[sgprShadowLimitA+0]    // Move shadow to real if we are within 2^32

/* global read inc B loopL */
s_add_u32 s[sgprSrdB+0], s[sgprSrdB+0], s[sgprGlobalReadIncsB+0] // gra SRD += inc(lower)
s_waitcnt lgkmcnt(6)                               // lgkmcnt=0 vmcnt=-1wait for prior local read local write old=0, new=6 newLW=0 newLR=6
/* pack scheduling: packAIdx:2, packBIdx:0 */
v_or_b32 v[vgprValuA_X2_I0+0], v[vgprValuA_X2_I0+0], v103 // pack two half Vgpr to one Vgpr
v_or_b32 v[vgprValuA_X2_I0+1], v[vgprValuA_X2_I0+1], v104 // pack two half Vgpr to one Vgpr
	;; [unrolled: 1-line block ×4, first 2 shown]
v_mfma_f32_32x32x8f16 a[0+0:15+0], v[vgprValuA_X2_I0+0+0+0:vgprValuA_X2_I0+0+0+0+1], v[vgprValuB_X2_I0+0+0+0:vgprValuB_X2_I0+0+0+0+1], a[0:15]
/*  mfmaIndex:33  */
_ds_load_u16_d16_hi v117, v[vgprLocalReadAddrA] offset:11010 // L -> Reg lro=5120 swapByteOffset=0 ti=128 vIdx=1 rIdx=1 oIdx=0 buffer=3 iui=0
_ds_load_u16_d16_hi v118, v[vgprLocalReadAddrA] offset:12034 // L -> Reg lro=5120 swapByteOffset=0 ti=128 vIdx=1 rIdx=3 oIdx=0 buffer=3 iui=0
/* localReadsVacancy: latencyLeft 9 */
s_addc_u32  s[sgprSrdB+1], s[sgprSrdB+1], 0        // gra SRD += inc(upper)
s_sub_u32 s[sgprShadowLimitB+0], s[sgprShadowLimitB+0], s[sgprGlobalReadIncsB+0] // limit -= inc)
s_subb_u32 s[sgprShadowLimitB+1], s[sgprShadowLimitB+1], 0 // limit -= inc)
s_cmp_eq_u32 s[sgprShadowLimitB+1], 0              // are we within 2^32?
s_cmov_b32 s[sgprSrdB+2], s[sgprShadowLimitB+0]    // Move shadow to real if we are within 2^32
/* pack scheduling: packAIdx:4, packBIdx:0 */
v_or_b32 v[vgprValuA_X2_I0+4], v[vgprValuA_X2_I0+4], v107 // pack two half Vgpr to one Vgpr
v_or_b32 v[vgprValuA_X2_I0+5], v[vgprValuA_X2_I0+5], v108 // pack two half Vgpr to one Vgpr
	;; [unrolled: 1-line block ×4, first 2 shown]
v_mfma_f32_32x32x8f16 a[16+0:31+0], v[vgprValuA_X2_I0+2+0+0:vgprValuA_X2_I0+2+0+0+1], v[vgprValuB_X2_I0+0+0+0:vgprValuB_X2_I0+0+0+0+1], a[16:31]
/*  mfmaIndex:34  */
/* localReadsVacancy: latencyLeft 13 */
/* 1 LDS buffer: read-sync-write */
s_waitcnt lgkmcnt(0)                               // 
s_barrier                                          // 
v_mfma_f32_32x32x8f16 a[32+0:47+0], v[vgprValuA_X2_I0+4+0+0:vgprValuA_X2_I0+4+0+0+1], v[vgprValuB_X2_I0+0+0+0:vgprValuB_X2_I0+0+0+0+1], a[32:47]
/*  mfmaIndex:35  */
/* localReadsVacancy: latencyLeft 5 */
/* sched write - iter 2 writesPerItem=1 */
s_waitcnt vmcnt(0)                                 // lgkmcnt=-1 vmcnt=0wait for global read before writing to local
_ds_store_b32 v[vgprLocalWriteAddrA], v[vgprG2LA+0] offset:0 // lwoA_0_0_0_0 = (0*LSCA) + (0*LSPA)(*MT0I+PAD) = 0
/* sched write - iter 2 writesPerItem=1 */
s_waitcnt vmcnt(0)                                 // lgkmcnt=-1 vmcnt=0wait for global read before writing to local
_ds_store_b32 v[vgprLocalWriteAddrA], v[vgprG2LA+1] offset:256 // lwoA_1_0_0_0 = (1*LSCA) + (0*LSPA)(*MT0I+PAD) = 256
v_mfma_f32_32x32x8f16 a[48+0:63+0], v[vgprValuA_X2_I0+6+0+0:vgprValuA_X2_I0+6+0+0+1], v[vgprValuB_X2_I0+0+0+0:vgprValuB_X2_I0+0+0+0+1], a[48:63]
/*  mfmaIndex:36  */
/* sched write - iter 2 writesPerItem=1 */
s_waitcnt vmcnt(0)                                 // lgkmcnt=-1 vmcnt=0wait for global read before writing to local
_ds_store_b32 v[vgprLocalWriteAddrA], v[vgprG2LA+2] offset:512 // lwoA_0_0_1_0 = (0*LSCA) + (1*LSPA)(*MT0I+PAD) = 512
/* sched write - iter 2 writesPerItem=1 */
s_waitcnt vmcnt(0)                                 // lgkmcnt=-1 vmcnt=0wait for global read before writing to local
_ds_store_b32 v[vgprLocalWriteAddrA], v[vgprG2LA+3] offset:768 // lwoA_1_0_1_0 = (1*LSCA) + (1*LSPA)(*MT0I+PAD) = 768
v_mfma_f32_32x32x8f16 a[112+0:127+0], v[vgprValuA_X2_I0+6+0+0:vgprValuA_X2_I0+6+0+0+1], v[vgprValuB_X2_I0+4+0+0:vgprValuB_X2_I0+4+0+0+1], a[112:127]
/*  mfmaIndex:37  */
/* sched write - iter 2 writesPerItem=1 */
s_waitcnt vmcnt(0)                                 // lgkmcnt=-1 vmcnt=0wait for global read before writing to local
_ds_store_b32 v[vgprLocalWriteAddrA], v[vgprG2LA+4] offset:1024 // lwoA_0_0_2_0 = (0*LSCA) + (2*LSPA)(*MT0I+PAD) = 1024
v_mfma_f32_32x32x8f16 a[96+0:111+0], v[vgprValuA_X2_I0+4+0+0:vgprValuA_X2_I0+4+0+0+1], v[vgprValuB_X2_I0+4+0+0:vgprValuB_X2_I0+4+0+0+1], a[96:111]
/*  mfmaIndex:38  */
/* sched write - iter 2 writesPerItem=1 */
s_waitcnt vmcnt(0)                                 // lgkmcnt=-1 vmcnt=0wait for global read before writing to local
_ds_store_b32 v[vgprLocalWriteAddrA], v[vgprG2LA+5] offset:1280 // lwoA_1_0_2_0 = (1*LSCA) + (2*LSPA)(*MT0I+PAD) = 1280
/* sched write - iter 2 writesPerItem=1 */
s_waitcnt vmcnt(0)                                 // lgkmcnt=-1 vmcnt=0wait for global read before writing to local
_ds_store_b32 v[vgprLocalWriteAddrA], v[vgprG2LA+6] offset:1536 // lwoA_0_0_3_0 = (0*LSCA) + (3*LSPA)(*MT0I+PAD) = 1536
v_mfma_f32_32x32x8f16 a[80+0:95+0], v[vgprValuA_X2_I0+2+0+0:vgprValuA_X2_I0+2+0+0+1], v[vgprValuB_X2_I0+4+0+0:vgprValuB_X2_I0+4+0+0+1], a[80:95]
/*  mfmaIndex:39  */
/* sched write - iter 2 writesPerItem=1 */
s_waitcnt vmcnt(0)                                 // lgkmcnt=-1 vmcnt=0wait for global read before writing to local
_ds_store_b32 v[vgprLocalWriteAddrA], v[vgprG2LA+7] offset:1792 // lwoA_1_0_3_0 = (1*LSCA) + (3*LSPA)(*MT0I+PAD) = 1792
v_mfma_f32_32x32x8f16 a[64+0:79+0], v[vgprValuA_X2_I0+0+0+0:vgprValuA_X2_I0+0+0+0+1], v[vgprValuB_X2_I0+4+0+0:vgprValuB_X2_I0+4+0+0+1], a[64:79]
/*  mfmaIndex:40  */
/* sched write - iter 2 writesPerItem=1 */
s_waitcnt vmcnt(0)                                 // lgkmcnt=-1 vmcnt=0wait for global read before writing to local
_ds_store_b32 v[vgprLocalWriteAddrA], v[vgprG2LA+8] offset:2048 // lwoA_0_0_4_0 = (0*LSCA) + (4*LSPA)(*MT0I+PAD) = 2048
/* sched write - iter 2 writesPerItem=1 */
s_waitcnt vmcnt(0)                                 // lgkmcnt=-1 vmcnt=0wait for global read before writing to local
_ds_store_b32 v[vgprLocalWriteAddrA], v[vgprG2LA+9] offset:2304 // lwoA_1_0_4_0 = (1*LSCA) + (4*LSPA)(*MT0I+PAD) = 2304
v_mfma_f32_32x32x8f16 a[128+0:143+0], v[vgprValuA_X2_I0+0+0+0:vgprValuA_X2_I0+0+0+0+1], v[vgprValuB_X2_I0+8+0+0:vgprValuB_X2_I0+8+0+0+1], a[128:143]
/*  mfmaIndex:41  */
/* sched write - iter 2 writesPerItem=1 */
s_waitcnt vmcnt(0)                                 // lgkmcnt=-1 vmcnt=0wait for global read before writing to local
_ds_store_b32 v[vgprLocalWriteAddrA], v[vgprG2LA+10] offset:2560 // lwoA_0_0_5_0 = (0*LSCA) + (5*LSPA)(*MT0I+PAD) = 2560
v_mfma_f32_32x32x8f16 a[144+0:159+0], v[vgprValuA_X2_I0+2+0+0:vgprValuA_X2_I0+2+0+0+1], v[vgprValuB_X2_I0+8+0+0:vgprValuB_X2_I0+8+0+0+1], a[144:159]
/*  mfmaIndex:42  */
/* sched write - iter 2 writesPerItem=1 */
s_waitcnt vmcnt(0)                                 // lgkmcnt=-1 vmcnt=0wait for global read before writing to local
_ds_store_b32 v[vgprLocalWriteAddrA], v[vgprG2LA+11] offset:2816 // lwoA_1_0_5_0 = (1*LSCA) + (5*LSPA)(*MT0I+PAD) = 2816
/* sched write - iter 2 writesPerItem=1 */
s_waitcnt vmcnt(0)                                 // lgkmcnt=-1 vmcnt=0wait for global read before writing to local
_ds_store_b32 v[vgprLocalWriteAddrA], v[vgprG2LA+12] offset:3072 // lwoA_0_0_6_0 = (0*LSCA) + (6*LSPA)(*MT0I+PAD) = 3072
v_mfma_f32_32x32x8f16 a[160+0:175+0], v[vgprValuA_X2_I0+4+0+0:vgprValuA_X2_I0+4+0+0+1], v[vgprValuB_X2_I0+8+0+0:vgprValuB_X2_I0+8+0+0+1], a[160:175]
/*  mfmaIndex:43  */
/* sched write - iter 2 writesPerItem=1 */
s_waitcnt vmcnt(0)                                 // lgkmcnt=-1 vmcnt=0wait for global read before writing to local
_ds_store_b32 v[vgprLocalWriteAddrA], v[vgprG2LA+13] offset:3328 // lwoA_1_0_6_0 = (1*LSCA) + (6*LSPA)(*MT0I+PAD) = 3328
/* sched write - iter 2 writesPerItem=1 */
s_waitcnt vmcnt(0)                                 // lgkmcnt=-1 vmcnt=0wait for global read before writing to local
_ds_store_b32 v[vgprLocalWriteAddrA], v[vgprG2LA+14] offset:3584 // lwoA_0_0_7_0 = (0*LSCA) + (7*LSPA)(*MT0I+PAD) = 3584
v_mfma_f32_32x32x8f16 a[176+0:191+0], v[vgprValuA_X2_I0+6+0+0:vgprValuA_X2_I0+6+0+0+1], v[vgprValuB_X2_I0+8+0+0:vgprValuB_X2_I0+8+0+0+1], a[176:191]
/*  mfmaIndex:44  */
/* sched write - iter 2 writesPerItem=1 */
s_waitcnt vmcnt(0)                                 // lgkmcnt=-1 vmcnt=0wait for global read before writing to local
_ds_store_b32 v[vgprLocalWriteAddrA], v[vgprG2LA+15] offset:3840 // lwoA_1_0_7_0 = (1*LSCA) + (7*LSPA)(*MT0I+PAD) = 3840
v_mfma_f32_32x32x8f16 a[240+0:255+0], v[vgprValuA_X2_I0+6+0+0:vgprValuA_X2_I0+6+0+0+1], v[vgprValuB_X2_I0+12+0+0:vgprValuB_X2_I0+12+0+0+1], a[240:255]
/*  mfmaIndex:45  */
/* sched write - iter 2 writesPerItem=1 */
s_waitcnt vmcnt(0)                                 // lgkmcnt=-1 vmcnt=0wait for global read before writing to local
_ds_store_b32 v[vgprLocalWriteAddrB], v[vgprG2LB+0] offset:0 // lwoB_0_0_0_0 = (0*LSCB)*(MT1J+PAD) + (0*LSPB) = 0
/* sched write - iter 2 writesPerItem=1 */
s_waitcnt vmcnt(0)                                 // lgkmcnt=-1 vmcnt=0wait for global read before writing to local
_ds_store_b32 v[vgprLocalWriteAddrB], v[vgprG2LB+1] offset:288 // lwoB_0_0_1_0 = (0*LSCB)*(MT1J+PAD) + (1*LSPB) = 288
v_mfma_f32_32x32x8f16 a[224+0:239+0], v[vgprValuA_X2_I0+4+0+0:vgprValuA_X2_I0+4+0+0+1], v[vgprValuB_X2_I0+12+0+0:vgprValuB_X2_I0+12+0+0+1], a[224:239]
/*  mfmaIndex:46  */
/* sched write - iter 2 writesPerItem=1 */
s_waitcnt vmcnt(0)                                 // lgkmcnt=-1 vmcnt=0wait for global read before writing to local
_ds_store_b32 v[vgprLocalWriteAddrB], v[vgprG2LB+2] offset:576 // lwoB_0_0_2_0 = (0*LSCB)*(MT1J+PAD) + (2*LSPB) = 576
v_mfma_f32_32x32x8f16 a[208+0:223+0], v[vgprValuA_X2_I0+2+0+0:vgprValuA_X2_I0+2+0+0+1], v[vgprValuB_X2_I0+12+0+0:vgprValuB_X2_I0+12+0+0+1], a[208:223]
/*  mfmaIndex:47  */
/* sched write - iter 2 writesPerItem=1 */
s_waitcnt vmcnt(0)                                 // lgkmcnt=-1 vmcnt=0wait for global read before writing to local
_ds_store_b32 v[vgprLocalWriteAddrB], v[vgprG2LB+3] offset:864 // lwoB_0_0_3_0 = (0*LSCB)*(MT1J+PAD) + (3*LSPB) = 864
/* sched write - iter 2 writesPerItem=1 */
s_waitcnt vmcnt(0)                                 // lgkmcnt=-1 vmcnt=0wait for global read before writing to local
_ds_store_b32 v[vgprLocalWriteAddrB], v[vgprG2LB+4] offset:1152 // lwoB_0_0_4_0 = (0*LSCB)*(MT1J+PAD) + (4*LSPB) = 1152

/* local read swap offsets a */

/* local read swap offsets b */

/* local read init pointers a */

/* localReadInitPointers */

/* local read init pointers b */

/* localReadInitPointers */
v_mfma_f32_32x32x8f16 a[192+0:207+0], v[vgprValuA_X2_I0+0+0+0:vgprValuA_X2_I0+0+0+0+1], v[vgprValuB_X2_I0+12+0+0:vgprValuB_X2_I0+12+0+0+1], a[192:207]
/* numPrefetchIter=0 */
/* dataAtIterA=1 numReadsIterA=3 skipReadsIterA=1 readsPerIterA=16 */
/* dataAtIterB=0 numReadsIterB=1 skipReadsIterB=0 readsPerIterB=4 */


/* iter 3 (swap and reset local write pointers iteration)  */

/*  grEndMfmaIndex:31, lwStartMfmaIndex:35, lwEndMfmaIndex:55  */
/*  numMfmaForLR:6, barrierMfmaIndex:57 */
/*  mfmaIndex:48  */
/* sched write - iter 3 writesPerItem=1 */
s_waitcnt vmcnt(0)                                 // lgkmcnt=-1 vmcnt=0wait for global read before writing to local
_ds_store_b32 v[vgprLocalWriteAddrB], v[vgprG2LB+5] offset:1440 // lwoB_0_0_5_0 = (0*LSCB)*(MT1J+PAD) + (5*LSPB) = 1440
/* pack scheduling: packAIdx:2, packBIdx:0 */
v_or_b32 v[vgprValuA_X3_I0+0], v[vgprValuA_X3_I0+0], v111 // pack two half Vgpr to one Vgpr
v_or_b32 v[vgprValuA_X3_I0+1], v[vgprValuA_X3_I0+1], v112 // pack two half Vgpr to one Vgpr
	;; [unrolled: 1-line block ×4, first 2 shown]
v_mfma_f32_32x32x8f16 a[0+0:15+0], v[vgprValuA_X3_I0+0+0+0:vgprValuA_X3_I0+0+0+0+1], v[vgprValuB_X2_I0+0+2+0:vgprValuB_X2_I0+0+2+0+1], a[0:15]
/*  mfmaIndex:49  */
/* sched write - iter 3 writesPerItem=1 */
s_waitcnt vmcnt(0)                                 // lgkmcnt=-1 vmcnt=0wait for global read before writing to local
_ds_store_b32 v[vgprLocalWriteAddrB], v[vgprG2LB+6] offset:1728 // lwoB_0_0_6_0 = (0*LSCB)*(MT1J+PAD) + (6*LSPB) = 1728
/* sched write - iter 3 writesPerItem=1 */
s_waitcnt vmcnt(0)                                 // lgkmcnt=-1 vmcnt=0wait for global read before writing to local
_ds_store_b32 v[vgprLocalWriteAddrB], v[vgprG2LB+7] offset:2016 // lwoB_0_0_7_0 = (0*LSCB)*(MT1J+PAD) + (7*LSPB) = 2016
/* pack scheduling: packAIdx:4, packBIdx:0 */
v_or_b32 v[vgprValuA_X3_I0+4], v[vgprValuA_X3_I0+4], v115 // pack two half Vgpr to one Vgpr
v_or_b32 v[vgprValuA_X3_I0+5], v[vgprValuA_X3_I0+5], v116 // pack two half Vgpr to one Vgpr
	;; [unrolled: 1-line block ×4, first 2 shown]
v_mfma_f32_32x32x8f16 a[16+0:31+0], v[vgprValuA_X3_I0+2+0+0:vgprValuA_X3_I0+2+0+0+1], v[vgprValuB_X2_I0+0+2+0:vgprValuB_X2_I0+0+2+0+1], a[16:31]
/*  mfmaIndex:50  */
/* sched write - iter 3 writesPerItem=1 */
s_waitcnt vmcnt(0)                                 // lgkmcnt=-1 vmcnt=0wait for global read before writing to local
_ds_store_b32 v[vgprLocalWriteAddrB], v[vgprG2LB+8] offset:2304 // lwoB_0_0_8_0 = (0*LSCB)*(MT1J+PAD) + (8*LSPB) = 2304
v_mfma_f32_32x32x8f16 a[32+0:47+0], v[vgprValuA_X3_I0+4+0+0:vgprValuA_X3_I0+4+0+0+1], v[vgprValuB_X2_I0+0+2+0:vgprValuB_X2_I0+0+2+0+1], a[32:47]
/*  mfmaIndex:51  */
/* sched write - iter 3 writesPerItem=1 */
s_waitcnt vmcnt(0)                                 // lgkmcnt=-1 vmcnt=0wait for global read before writing to local
_ds_store_b32 v[vgprLocalWriteAddrB], v[vgprG2LB+9] offset:2592 // lwoB_0_0_9_0 = (0*LSCB)*(MT1J+PAD) + (9*LSPB) = 2592
/* sched write - iter 3 writesPerItem=1 */
s_waitcnt vmcnt(0)                                 // lgkmcnt=-1 vmcnt=0wait for global read before writing to local
_ds_store_b32 v[vgprLocalWriteAddrB], v[vgprG2LB+10] offset:2880 // lwoB_0_0_10_0 = (0*LSCB)*(MT1J+PAD) + (10*LSPB) = 2880
v_mfma_f32_32x32x8f16 a[48+0:63+0], v[vgprValuA_X3_I0+6+0+0:vgprValuA_X3_I0+6+0+0+1], v[vgprValuB_X2_I0+0+2+0:vgprValuB_X2_I0+0+2+0+1], a[48:63]
/*  mfmaIndex:52  */
/* sched write - iter 3 writesPerItem=1 */
s_waitcnt vmcnt(0)                                 // lgkmcnt=-1 vmcnt=0wait for global read before writing to local
_ds_store_b32 v[vgprLocalWriteAddrB], v[vgprG2LB+11] offset:3168 // lwoB_0_0_11_0 = (0*LSCB)*(MT1J+PAD) + (11*LSPB) = 3168
/* sched write - iter 3 writesPerItem=1 */
s_waitcnt vmcnt(0)                                 // lgkmcnt=-1 vmcnt=0wait for global read before writing to local
_ds_store_b32 v[vgprLocalWriteAddrB], v[vgprG2LB+12] offset:3456 // lwoB_0_0_12_0 = (0*LSCB)*(MT1J+PAD) + (12*LSPB) = 3456
v_mfma_f32_32x32x8f16 a[112+0:127+0], v[vgprValuA_X3_I0+6+0+0:vgprValuA_X3_I0+6+0+0+1], v[vgprValuB_X2_I0+4+2+0:vgprValuB_X2_I0+4+2+0+1], a[112:127]
/*  mfmaIndex:53  */
/* sched write - iter 3 writesPerItem=1 */
s_waitcnt vmcnt(0)                                 // lgkmcnt=-1 vmcnt=0wait for global read before writing to local
_ds_store_b32 v[vgprLocalWriteAddrB], v[vgprG2LB+13] offset:3744 // lwoB_0_0_13_0 = (0*LSCB)*(MT1J+PAD) + (13*LSPB) = 3744
v_mfma_f32_32x32x8f16 a[96+0:111+0], v[vgprValuA_X3_I0+4+0+0:vgprValuA_X3_I0+4+0+0+1], v[vgprValuB_X2_I0+4+2+0:vgprValuB_X2_I0+4+2+0+1], a[96:111]
/*  mfmaIndex:54  */
/* sched write - iter 3 writesPerItem=1 */
s_waitcnt vmcnt(0)                                 // lgkmcnt=-1 vmcnt=0wait for global read before writing to local
_ds_store_b32 v[vgprLocalWriteAddrB], v[vgprG2LB+14] offset:4032 // lwoB_0_0_14_0 = (0*LSCB)*(MT1J+PAD) + (14*LSPB) = 4032
/* sched write - iter 3 writesPerItem=1 */
s_waitcnt vmcnt(0)                                 // lgkmcnt=-1 vmcnt=0wait for global read before writing to local
_ds_store_b32 v[vgprLocalWriteAddrB], v[vgprG2LB+15] offset:4320 // lwoB_0_0_15_0 = (0*LSCB)*(MT1J+PAD) + (15*LSPB) = 4320
v_mfma_f32_32x32x8f16 a[80+0:95+0], v[vgprValuA_X3_I0+2+0+0:vgprValuA_X3_I0+2+0+0+1], v[vgprValuB_X2_I0+4+2+0:vgprValuB_X2_I0+4+2+0+1], a[80:95]
/*  mfmaIndex:55  */

/* local write swap offsets a */

/* local write swap offsets b */
v_mfma_f32_32x32x8f16 a[64+0:79+0], v[vgprValuA_X3_I0+0+0+0:vgprValuA_X3_I0+0+0+0+1], v[vgprValuB_X2_I0+4+2+0:vgprValuB_X2_I0+4+2+0+1], a[64:79]
/*  mfmaIndex:56  */
v_mfma_f32_32x32x8f16 a[128+0:143+0], v[vgprValuA_X3_I0+0+0+0:vgprValuA_X3_I0+0+0+0+1], v[vgprValuB_X2_I0+8+2+0:vgprValuB_X2_I0+8+2+0+1], a[128:143]
/*  mfmaIndex:57  */
s_waitcnt lgkmcnt(0)                               // lgkmcnt=0 vmcnt=-13wait for local write
s_waitcnt lgkmcnt(0) & vmcnt(0)                    // force waitcnt0
s_barrier //
v_mfma_f32_32x32x8f16 a[144+0:159+0], v[vgprValuA_X3_I0+2+0+0:vgprValuA_X3_I0+2+0+0+1], v[vgprValuB_X2_I0+8+2+0:vgprValuB_X2_I0+8+2+0+1], a[144:159]
/*  mfmaIndex:58  */
_ds_load_u16 v[vgprValuA_X0_I0+0], v[vgprLocalReadAddrA] offset:0 // L -> Reg lro=0 swapByteOffset=0 ti=128 vIdx=0 rIdx=0 oIdx=0 buffer=0 iui=0
_ds_load_u16_d16_hi v103, v[vgprLocalReadAddrA] offset:512 // L -> Reg lro=0 swapByteOffset=0 ti=128 vIdx=0 rIdx=1 oIdx=0 buffer=0 iui=0
_ds_load_u16 v[vgprValuA_X0_I0+1], v[vgprLocalReadAddrA] offset:1024 // L -> Reg lro=0 swapByteOffset=0 ti=128 vIdx=0 rIdx=2 oIdx=0 buffer=0 iui=0
_ds_load_u16_d16_hi v104, v[vgprLocalReadAddrA] offset:1536 // L -> Reg lro=0 swapByteOffset=0 ti=128 vIdx=0 rIdx=3 oIdx=0 buffer=0 iui=0
_ds_load_b128 v[vgprValuB_X0_I0+0:vgprValuB_X0_I0+0+3], v[vgprLocalReadAddrB] offset:0 // L -> Reg lro=0 swapByteOffset=0 ti=128 vIdx=0 rIdx=0 oIdx=0 buffer=0 iui=0
v_mfma_f32_32x32x8f16 a[160+0:175+0], v[vgprValuA_X3_I0+4+0+0:vgprValuA_X3_I0+4+0+0+1], v[vgprValuB_X2_I0+8+2+0:vgprValuB_X2_I0+8+2+0+1], a[160:175]
/*  mfmaIndex:59  */
_ds_load_u16 v[vgprValuA_X0_I0+2], v[vgprLocalReadAddrA] offset:2 // L -> Reg lro=0 swapByteOffset=0 ti=128 vIdx=0 rIdx=0 oIdx=0 buffer=0 iui=0
_ds_load_u16_d16_hi v105, v[vgprLocalReadAddrA] offset:514 // L -> Reg lro=0 swapByteOffset=0 ti=128 vIdx=0 rIdx=1 oIdx=0 buffer=0 iui=0
_ds_load_u16 v[vgprValuA_X0_I0+3], v[vgprLocalReadAddrA] offset:1026 // L -> Reg lro=0 swapByteOffset=0 ti=128 vIdx=0 rIdx=2 oIdx=0 buffer=0 iui=0
_ds_load_u16_d16_hi v106, v[vgprLocalReadAddrA] offset:1538 // L -> Reg lro=0 swapByteOffset=0 ti=128 vIdx=0 rIdx=3 oIdx=0 buffer=0 iui=0
	;; [unrolled: 2-line block ×3, first 2 shown]
v_mfma_f32_32x32x8f16 a[176+0:191+0], v[vgprValuA_X3_I0+6+0+0:vgprValuA_X3_I0+6+0+0+1], v[vgprValuB_X2_I0+8+2+0:vgprValuB_X2_I0+8+2+0+1], a[176:191]
/*  mfmaIndex:60  */
_ds_load_u16 v[vgprValuA_X0_I0+5], v[vgprLocalReadAddrA] offset:1280 // L -> Reg lro=0 swapByteOffset=0 ti=128 vIdx=1 rIdx=2 oIdx=0 buffer=0 iui=0
_ds_load_u16_d16_hi v108, v[vgprLocalReadAddrA] offset:1792 // L -> Reg lro=0 swapByteOffset=0 ti=128 vIdx=1 rIdx=3 oIdx=0 buffer=0 iui=0
_ds_load_u16 v[vgprValuA_X0_I0+6], v[vgprLocalReadAddrA] offset:258 // L -> Reg lro=0 swapByteOffset=0 ti=128 vIdx=1 rIdx=0 oIdx=0 buffer=0 iui=0
_ds_load_u16_d16_hi v109, v[vgprLocalReadAddrA] offset:770 // L -> Reg lro=0 swapByteOffset=0 ti=128 vIdx=1 rIdx=1 oIdx=0 buffer=0 iui=0
	;; [unrolled: 2-line block ×3, first 2 shown]
v_mfma_f32_32x32x8f16 a[240+0:255+0], v[vgprValuA_X3_I0+6+0+0:vgprValuA_X3_I0+6+0+0+1], v[vgprValuB_X2_I0+12+2+0:vgprValuB_X2_I0+12+2+0+1], a[240:255]
/*  mfmaIndex:61  */
_ds_load_b128 v[vgprValuB_X0_I0+4:vgprValuB_X0_I0+4+3], v[vgprLocalReadAddrB] offset:64 // L -> Reg lro=0 swapByteOffset=0 ti=128 vIdx=0 rIdx=0 oIdx=0 buffer=0 iui=0
_ds_load_b128 v[vgprValuB_X0_I0+8:vgprValuB_X0_I0+8+3], v[vgprLocalReadAddrB] offset:9216 // L -> Reg lro=0 swapByteOffset=0 ti=128 vIdx=1 rIdx=0 oIdx=0 buffer=0 iui=0
	;; [unrolled: 1-line block ×3, first 2 shown]
v_mfma_f32_32x32x8f16 a[224+0:239+0], v[vgprValuA_X3_I0+4+0+0:vgprValuA_X3_I0+4+0+0+1], v[vgprValuB_X2_I0+12+2+0:vgprValuB_X2_I0+12+2+0+1], a[224:239]
/*  mfmaIndex:62  */
v_mfma_f32_32x32x8f16 a[208+0:223+0], v[vgprValuA_X3_I0+2+0+0:vgprValuA_X3_I0+2+0+0+1], v[vgprValuB_X2_I0+12+2+0:vgprValuB_X2_I0+12+2+0+1], a[208:223]
/*  mfmaIndex:63  */
v_mfma_f32_32x32x8f16 a[192+0:207+0], v[vgprValuA_X3_I0+0+0+0:vgprValuA_X3_I0+0+0+0+1], v[vgprValuB_X2_I0+12+2+0:vgprValuB_X2_I0+12+2+0+1], a[192:207]


/******************************************/
/* Unrolled Loop - End 2/2 (final)        */
/******************************************/


/* closeLoop loopL finalLoop=1 tailLoop=0 */
s_sub_u32 s[sgprLoopCounterL], s[sgprLoopCounterL], 1 // dec counterL
s_cmp_eq_i32 s[sgprLoopCounterL], 0x1              // counterL==1
s_cbranch_scc0 LoopBeginL_1                        // restart LoopL
LoopEndL_evenexit_4: // unroll loop eveniter exit
s_branch LoopEndL_2                                // exit unroll loopL (and skip second exit code)
LoopEndL_oddexit_3: // unroll loop odditer exit

/* Select high bank of LDS */
LoopEndL_2:


/* Before NLL: Check VGPR.checkin for INT8 LW */


/******************************************/
/* Ord. NoLoadLoop - Begin                                      */
/******************************************/


	;; [unrolled: 1-line block ×4, first 2 shown]
/* iter 0 (last unrolled loop) */

/*  grEndMfmaIndex:0, lwStartMfmaIndex:55, lwEndMfmaIndex:55  */
/*  numMfmaForLR:6, barrierMfmaIndex:57 */
/*  mfmaIndex:0  */
s_waitcnt lgkmcnt(0)                               // lgkmcnt=0 vmcnt=-1wait for prior local read local write old=0, new=0 newLW=0 newLR=0
/* pack scheduling: packAIdx:2, packBIdx:0 */
v_or_b32 v[vgprValuA_X0_I0+0], v[vgprValuA_X0_I0+0], v103 // pack two half Vgpr to one Vgpr
v_or_b32 v[vgprValuA_X0_I0+1], v[vgprValuA_X0_I0+1], v104 // pack two half Vgpr to one Vgpr
	;; [unrolled: 1-line block ×4, first 2 shown]
v_mfma_f32_32x32x8f16 a[0+0:15+0], v[vgprValuA_X0_I0+0+0+0:vgprValuA_X0_I0+0+0+0+1], v[vgprValuB_X0_I0+0+0+0:vgprValuB_X0_I0+0+0+0+1], a[0:15]
/*  mfmaIndex:1  */
_ds_load_u16 v[vgprValuA_X1_I0+0], v[vgprLocalReadAddrA] offset:2048 // L -> Reg lro=1024 swapByteOffset=0 ti=128 vIdx=0 rIdx=0 oIdx=0 buffer=1 iui=0
_ds_load_u16_d16_hi v111, v[vgprLocalReadAddrA] offset:2560 // L -> Reg lro=1024 swapByteOffset=0 ti=128 vIdx=0 rIdx=1 oIdx=0 buffer=1 iui=0
_ds_load_u16 v[vgprValuA_X1_I0+1], v[vgprLocalReadAddrA] offset:3072 // L -> Reg lro=1024 swapByteOffset=0 ti=128 vIdx=0 rIdx=2 oIdx=0 buffer=1 iui=0
_ds_load_u16_d16_hi v112, v[vgprLocalReadAddrA] offset:3584 // L -> Reg lro=1024 swapByteOffset=0 ti=128 vIdx=0 rIdx=3 oIdx=0 buffer=1 iui=0
_ds_load_b128 v[vgprValuB_X2_I0+0:vgprValuB_X2_I0+0+3], v[vgprLocalReadAddrB] offset:32 // L -> Reg lro=16 swapByteOffset=0 ti=128 vIdx=0 rIdx=0 oIdx=0 buffer=2 iui=0
/* pack scheduling: packAIdx:4, packBIdx:0 */
v_or_b32 v[vgprValuA_X0_I0+4], v[vgprValuA_X0_I0+4], v107 // pack two half Vgpr to one Vgpr
v_or_b32 v[vgprValuA_X0_I0+5], v[vgprValuA_X0_I0+5], v108 // pack two half Vgpr to one Vgpr
	;; [unrolled: 1-line block ×4, first 2 shown]
v_mfma_f32_32x32x8f16 a[16+0:31+0], v[vgprValuA_X0_I0+2+0+0:vgprValuA_X0_I0+2+0+0+1], v[vgprValuB_X0_I0+0+0+0:vgprValuB_X0_I0+0+0+0+1], a[16:31]
/*  mfmaIndex:2  */
_ds_load_u16 v[vgprValuA_X1_I0+2], v[vgprLocalReadAddrA] offset:2050 // L -> Reg lro=1024 swapByteOffset=0 ti=128 vIdx=0 rIdx=0 oIdx=0 buffer=1 iui=0
_ds_load_u16_d16_hi v113, v[vgprLocalReadAddrA] offset:2562 // L -> Reg lro=1024 swapByteOffset=0 ti=128 vIdx=0 rIdx=1 oIdx=0 buffer=1 iui=0
_ds_load_u16 v[vgprValuA_X1_I0+3], v[vgprLocalReadAddrA] offset:3074 // L -> Reg lro=1024 swapByteOffset=0 ti=128 vIdx=0 rIdx=2 oIdx=0 buffer=1 iui=0
_ds_load_u16_d16_hi v114, v[vgprLocalReadAddrA] offset:3586 // L -> Reg lro=1024 swapByteOffset=0 ti=128 vIdx=0 rIdx=3 oIdx=0 buffer=1 iui=0
	;; [unrolled: 2-line block ×3, first 2 shown]
v_mfma_f32_32x32x8f16 a[32+0:47+0], v[vgprValuA_X0_I0+4+0+0:vgprValuA_X0_I0+4+0+0+1], v[vgprValuB_X0_I0+0+0+0:vgprValuB_X0_I0+0+0+0+1], a[32:47]
/*  mfmaIndex:3  */
_ds_load_u16 v[vgprValuA_X1_I0+5], v[vgprLocalReadAddrA] offset:3328 // L -> Reg lro=1024 swapByteOffset=0 ti=128 vIdx=1 rIdx=2 oIdx=0 buffer=1 iui=0
_ds_load_u16_d16_hi v116, v[vgprLocalReadAddrA] offset:3840 // L -> Reg lro=1024 swapByteOffset=0 ti=128 vIdx=1 rIdx=3 oIdx=0 buffer=1 iui=0
_ds_load_u16 v[vgprValuA_X1_I0+6], v[vgprLocalReadAddrA] offset:2306 // L -> Reg lro=1024 swapByteOffset=0 ti=128 vIdx=1 rIdx=0 oIdx=0 buffer=1 iui=0
_ds_load_u16_d16_hi v117, v[vgprLocalReadAddrA] offset:2818 // L -> Reg lro=1024 swapByteOffset=0 ti=128 vIdx=1 rIdx=1 oIdx=0 buffer=1 iui=0
	;; [unrolled: 2-line block ×3, first 2 shown]
v_mfma_f32_32x32x8f16 a[48+0:63+0], v[vgprValuA_X0_I0+6+0+0:vgprValuA_X0_I0+6+0+0+1], v[vgprValuB_X0_I0+0+0+0:vgprValuB_X0_I0+0+0+0+1], a[48:63]
/*  mfmaIndex:4  */
_ds_load_b128 v[vgprValuB_X2_I0+4:vgprValuB_X2_I0+4+3], v[vgprLocalReadAddrB] offset:96 // L -> Reg lro=16 swapByteOffset=0 ti=128 vIdx=0 rIdx=0 oIdx=0 buffer=2 iui=0
_ds_load_b128 v[vgprValuB_X2_I0+8:vgprValuB_X2_I0+8+3], v[vgprLocalReadAddrB] offset:9248 // L -> Reg lro=16 swapByteOffset=0 ti=128 vIdx=1 rIdx=0 oIdx=0 buffer=2 iui=0
	;; [unrolled: 1-line block ×3, first 2 shown]
/* localReadsVacancy: latencyLeft 1 */
v_mfma_f32_32x32x8f16 a[112+0:127+0], v[vgprValuA_X0_I0+6+0+0:vgprValuA_X0_I0+6+0+0+1], v[vgprValuB_X0_I0+4+0+0:vgprValuB_X0_I0+4+0+0+1], a[112:127]
/*  mfmaIndex:5  */
/* localReadsVacancy: latencyLeft 13 */
_ds_load_u16 v[vgprValuA_X2_I0+0], v[vgprLocalReadAddrA] offset:8192 // L -> Reg lro=4096 swapByteOffset=0 ti=128 vIdx=0 rIdx=0 oIdx=0 buffer=2 iui=0
_ds_load_u16 v[vgprValuA_X2_I0+1], v[vgprLocalReadAddrA] offset:9216 // L -> Reg lro=4096 swapByteOffset=0 ti=128 vIdx=0 rIdx=2 oIdx=0 buffer=2 iui=0
	;; [unrolled: 1-line block ×6, first 2 shown]
v_mfma_f32_32x32x8f16 a[96+0:111+0], v[vgprValuA_X0_I0+4+0+0:vgprValuA_X0_I0+4+0+0+1], v[vgprValuB_X0_I0+4+0+0:vgprValuB_X0_I0+4+0+0+1], a[96:111]
/*  mfmaIndex:6  */
/* localReadsVacancy: latencyLeft 13 */
_ds_load_u16 v[vgprValuA_X2_I0+6], v[vgprLocalReadAddrA] offset:8450 // L -> Reg lro=4096 swapByteOffset=0 ti=128 vIdx=1 rIdx=0 oIdx=0 buffer=2 iui=0
_ds_load_u16 v[vgprValuA_X2_I0+7], v[vgprLocalReadAddrA] offset:9474 // L -> Reg lro=4096 swapByteOffset=0 ti=128 vIdx=1 rIdx=2 oIdx=0 buffer=2 iui=0
_ds_load_u16 v[vgprValuA_X3_I0+0], v[vgprLocalReadAddrA] offset:10240 // L -> Reg lro=5120 swapByteOffset=0 ti=128 vIdx=0 rIdx=0 oIdx=0 buffer=3 iui=0
_ds_load_u16 v[vgprValuA_X3_I0+1], v[vgprLocalReadAddrA] offset:11264 // L -> Reg lro=5120 swapByteOffset=0 ti=128 vIdx=0 rIdx=2 oIdx=0 buffer=3 iui=0
	;; [unrolled: 1-line block ×4, first 2 shown]
v_mfma_f32_32x32x8f16 a[80+0:95+0], v[vgprValuA_X0_I0+2+0+0:vgprValuA_X0_I0+2+0+0+1], v[vgprValuB_X0_I0+4+0+0:vgprValuB_X0_I0+4+0+0+1], a[80:95]
/*  mfmaIndex:7  */
/* localReadsVacancy: latencyLeft 13 */
_ds_load_u16 v[vgprValuA_X3_I0+4], v[vgprLocalReadAddrA] offset:10496 // L -> Reg lro=5120 swapByteOffset=0 ti=128 vIdx=1 rIdx=0 oIdx=0 buffer=3 iui=0
_ds_load_u16 v[vgprValuA_X3_I0+5], v[vgprLocalReadAddrA] offset:11520 // L -> Reg lro=5120 swapByteOffset=0 ti=128 vIdx=1 rIdx=2 oIdx=0 buffer=3 iui=0
	;; [unrolled: 1-line block ×4, first 2 shown]
v_mfma_f32_32x32x8f16 a[64+0:79+0], v[vgprValuA_X0_I0+0+0+0:vgprValuA_X0_I0+0+0+0+1], v[vgprValuB_X0_I0+4+0+0:vgprValuB_X0_I0+4+0+0+1], a[64:79]
/*  mfmaIndex:8  */
/* localReadsVacancy: latencyLeft 13 */
v_mfma_f32_32x32x8f16 a[128+0:143+0], v[vgprValuA_X0_I0+0+0+0:vgprValuA_X0_I0+0+0+0+1], v[vgprValuB_X0_I0+8+0+0:vgprValuB_X0_I0+8+0+0+1], a[128:143]
/*  mfmaIndex:9  */
/* localReadsVacancy: latencyLeft 13 */
v_mfma_f32_32x32x8f16 a[144+0:159+0], v[vgprValuA_X0_I0+2+0+0:vgprValuA_X0_I0+2+0+0+1], v[vgprValuB_X0_I0+8+0+0:vgprValuB_X0_I0+8+0+0+1], a[144:159]
/*  mfmaIndex:10  */
/* localReadsVacancy: latencyLeft 13 */
v_mfma_f32_32x32x8f16 a[160+0:175+0], v[vgprValuA_X0_I0+4+0+0:vgprValuA_X0_I0+4+0+0+1], v[vgprValuB_X0_I0+8+0+0:vgprValuB_X0_I0+8+0+0+1], a[160:175]
/*  mfmaIndex:11  */
/* localReadsVacancy: latencyLeft 13 */
v_mfma_f32_32x32x8f16 a[176+0:191+0], v[vgprValuA_X0_I0+6+0+0:vgprValuA_X0_I0+6+0+0+1], v[vgprValuB_X0_I0+8+0+0:vgprValuB_X0_I0+8+0+0+1], a[176:191]
/*  mfmaIndex:12  */
/* localReadsVacancy: latencyLeft 13 */
v_mfma_f32_32x32x8f16 a[240+0:255+0], v[vgprValuA_X0_I0+6+0+0:vgprValuA_X0_I0+6+0+0+1], v[vgprValuB_X0_I0+12+0+0:vgprValuB_X0_I0+12+0+0+1], a[240:255]
/*  mfmaIndex:13  */
/* localReadsVacancy: latencyLeft 13 */
v_mfma_f32_32x32x8f16 a[224+0:239+0], v[vgprValuA_X0_I0+4+0+0:vgprValuA_X0_I0+4+0+0+1], v[vgprValuB_X0_I0+12+0+0:vgprValuB_X0_I0+12+0+0+1], a[224:239]
/*  mfmaIndex:14  */
/* localReadsVacancy: latencyLeft 13 */
v_mfma_f32_32x32x8f16 a[208+0:223+0], v[vgprValuA_X0_I0+2+0+0:vgprValuA_X0_I0+2+0+0+1], v[vgprValuB_X0_I0+12+0+0:vgprValuB_X0_I0+12+0+0+1], a[208:223]
/*  mfmaIndex:15  */
/* localReadsVacancy: latencyLeft 13 */
v_mfma_f32_32x32x8f16 a[192+0:207+0], v[vgprValuA_X0_I0+0+0+0:vgprValuA_X0_I0+0+0+0+1], v[vgprValuB_X0_I0+12+0+0:vgprValuB_X0_I0+12+0+0+1], a[192:207]
/* numPrefetchIter=0 */
/* dataAtIterA=-1 numReadsIterA=1 skipReadsIterA=1 readsPerIterA=16 */
/* dataAtIterB=-1 numReadsIterB=1 skipReadsIterB=1 readsPerIterB=4 */


/* iter 1 (last unrolled loop) */

/*  grEndMfmaIndex:0, lwStartMfmaIndex:55, lwEndMfmaIndex:55  */
/*  numMfmaForLR:6, barrierMfmaIndex:57 */
/*  mfmaIndex:16  */
_ds_load_u16_d16_hi v103, v[vgprLocalReadAddrA] offset:8704 // L -> Reg lro=4096 swapByteOffset=0 ti=128 vIdx=0 rIdx=1 oIdx=0 buffer=2 iui=0
_ds_load_u16_d16_hi v104, v[vgprLocalReadAddrA] offset:9728 // L -> Reg lro=4096 swapByteOffset=0 ti=128 vIdx=0 rIdx=3 oIdx=0 buffer=2 iui=0
	;; [unrolled: 1-line block ×6, first 2 shown]
s_waitcnt lgkmcnt(15)                              // lgkmcnt=0 vmcnt=-1wait for prior local read local write old=8, new=14 newLW=0 newLR=6
/* pack scheduling: packAIdx:2, packBIdx:0 */
v_or_b32 v[vgprValuA_X1_I0+0], v[vgprValuA_X1_I0+0], v111 // pack two half Vgpr to one Vgpr
v_or_b32 v[vgprValuA_X1_I0+1], v[vgprValuA_X1_I0+1], v112 // pack two half Vgpr to one Vgpr
	;; [unrolled: 1-line block ×4, first 2 shown]
v_mfma_f32_32x32x8f16 a[0+0:15+0], v[vgprValuA_X1_I0+0+0+0:vgprValuA_X1_I0+0+0+0+1], v[vgprValuB_X0_I0+0+2+0:vgprValuB_X0_I0+0+2+0+1], a[0:15]
/*  mfmaIndex:17  */
_ds_load_u16_d16_hi v109, v[vgprLocalReadAddrA] offset:8962 // L -> Reg lro=4096 swapByteOffset=0 ti=128 vIdx=1 rIdx=1 oIdx=0 buffer=2 iui=0
_ds_load_u16_d16_hi v110, v[vgprLocalReadAddrA] offset:9986 // L -> Reg lro=4096 swapByteOffset=0 ti=128 vIdx=1 rIdx=3 oIdx=0 buffer=2 iui=0
/* localReadsVacancy: latencyLeft 9 */
/* pack scheduling: packAIdx:4, packBIdx:0 */
v_or_b32 v[vgprValuA_X1_I0+4], v[vgprValuA_X1_I0+4], v115 // pack two half Vgpr to one Vgpr
v_or_b32 v[vgprValuA_X1_I0+5], v[vgprValuA_X1_I0+5], v116 // pack two half Vgpr to one Vgpr
	;; [unrolled: 1-line block ×4, first 2 shown]
v_mfma_f32_32x32x8f16 a[16+0:31+0], v[vgprValuA_X1_I0+2+0+0:vgprValuA_X1_I0+2+0+0+1], v[vgprValuB_X0_I0+0+2+0:vgprValuB_X0_I0+0+2+0+1], a[16:31]
/*  mfmaIndex:18  */
/* localReadsVacancy: latencyLeft 13 */
v_mfma_f32_32x32x8f16 a[32+0:47+0], v[vgprValuA_X1_I0+4+0+0:vgprValuA_X1_I0+4+0+0+1], v[vgprValuB_X0_I0+0+2+0:vgprValuB_X0_I0+0+2+0+1], a[32:47]
/*  mfmaIndex:19  */
/* localReadsVacancy: latencyLeft 13 */
	;; [unrolled: 3-line block ×14, first 2 shown]
v_mfma_f32_32x32x8f16 a[192+0:207+0], v[vgprValuA_X1_I0+0+0+0:vgprValuA_X1_I0+0+0+0+1], v[vgprValuB_X0_I0+12+2+0:vgprValuB_X0_I0+12+2+0+1], a[192:207]
/* numPrefetchIter=0 */
/* dataAtIterA=0 numReadsIterA=2 skipReadsIterA=1 readsPerIterA=16 */
/* dataAtIterB=-1 numReadsIterB=1 skipReadsIterB=0 readsPerIterB=4 */


/* iter 2 (last unrolled loop) */

/*  grEndMfmaIndex:0, lwStartMfmaIndex:55, lwEndMfmaIndex:55  */
/*  numMfmaForLR:6, barrierMfmaIndex:57 */
/*  mfmaIndex:32  */
_ds_load_u16_d16_hi v111, v[vgprLocalReadAddrA] offset:10752 // L -> Reg lro=5120 swapByteOffset=0 ti=128 vIdx=0 rIdx=1 oIdx=0 buffer=3 iui=0
_ds_load_u16_d16_hi v112, v[vgprLocalReadAddrA] offset:11776 // L -> Reg lro=5120 swapByteOffset=0 ti=128 vIdx=0 rIdx=3 oIdx=0 buffer=3 iui=0
	;; [unrolled: 1-line block ×6, first 2 shown]
s_waitcnt lgkmcnt(6)                               // lgkmcnt=0 vmcnt=-1wait for prior local read local write old=0, new=6 newLW=0 newLR=6
/* pack scheduling: packAIdx:2, packBIdx:0 */
v_or_b32 v[vgprValuA_X2_I0+0], v[vgprValuA_X2_I0+0], v103 // pack two half Vgpr to one Vgpr
v_or_b32 v[vgprValuA_X2_I0+1], v[vgprValuA_X2_I0+1], v104 // pack two half Vgpr to one Vgpr
	;; [unrolled: 1-line block ×4, first 2 shown]
v_mfma_f32_32x32x8f16 a[0+0:15+0], v[vgprValuA_X2_I0+0+0+0:vgprValuA_X2_I0+0+0+0+1], v[vgprValuB_X2_I0+0+0+0:vgprValuB_X2_I0+0+0+0+1], a[0:15]
/*  mfmaIndex:33  */
_ds_load_u16_d16_hi v117, v[vgprLocalReadAddrA] offset:11010 // L -> Reg lro=5120 swapByteOffset=0 ti=128 vIdx=1 rIdx=1 oIdx=0 buffer=3 iui=0
_ds_load_u16_d16_hi v118, v[vgprLocalReadAddrA] offset:12034 // L -> Reg lro=5120 swapByteOffset=0 ti=128 vIdx=1 rIdx=3 oIdx=0 buffer=3 iui=0
/* localReadsVacancy: latencyLeft 9 */
/* pack scheduling: packAIdx:4, packBIdx:0 */
v_or_b32 v[vgprValuA_X2_I0+4], v[vgprValuA_X2_I0+4], v107 // pack two half Vgpr to one Vgpr
v_or_b32 v[vgprValuA_X2_I0+5], v[vgprValuA_X2_I0+5], v108 // pack two half Vgpr to one Vgpr
	;; [unrolled: 1-line block ×4, first 2 shown]
v_mfma_f32_32x32x8f16 a[16+0:31+0], v[vgprValuA_X2_I0+2+0+0:vgprValuA_X2_I0+2+0+0+1], v[vgprValuB_X2_I0+0+0+0:vgprValuB_X2_I0+0+0+0+1], a[16:31]
/*  mfmaIndex:34  */
/* localReadsVacancy: latencyLeft 13 */
v_mfma_f32_32x32x8f16 a[32+0:47+0], v[vgprValuA_X2_I0+4+0+0:vgprValuA_X2_I0+4+0+0+1], v[vgprValuB_X2_I0+0+0+0:vgprValuB_X2_I0+0+0+0+1], a[32:47]
/*  mfmaIndex:35  */
/* localReadsVacancy: latencyLeft 13 */
	;; [unrolled: 3-line block ×14, first 2 shown]
v_mfma_f32_32x32x8f16 a[192+0:207+0], v[vgprValuA_X2_I0+0+0+0:vgprValuA_X2_I0+0+0+0+1], v[vgprValuB_X2_I0+12+0+0:vgprValuB_X2_I0+12+0+0+1], a[192:207]
/* numPrefetchIter=0 */
/* dataAtIterA=1 numReadsIterA=3 skipReadsIterA=1 readsPerIterA=16 */
/* dataAtIterB=0 numReadsIterB=1 skipReadsIterB=0 readsPerIterB=4 */


/* iter 3 (last unrolled loop) */

/*  grEndMfmaIndex:0, lwStartMfmaIndex:55, lwEndMfmaIndex:55  */
/*  numMfmaForLR:6, barrierMfmaIndex:57 */
/*  mfmaIndex:48  */
s_waitcnt lgkmcnt(0)                               // lgkmcnt=0 vmcnt=-1wait for prior local read local write old=0, new=0 newLW=0 newLR=0
/* pack scheduling: packAIdx:2, packBIdx:0 */
v_or_b32 v[vgprValuA_X3_I0+0], v[vgprValuA_X3_I0+0], v111 // pack two half Vgpr to one Vgpr
v_or_b32 v[vgprValuA_X3_I0+1], v[vgprValuA_X3_I0+1], v112 // pack two half Vgpr to one Vgpr
v_or_b32 v[vgprValuA_X3_I0+2], v[vgprValuA_X3_I0+2], v113 // pack two half Vgpr to one Vgpr
v_or_b32 v[vgprValuA_X3_I0+3], v[vgprValuA_X3_I0+3], v114 // pack two half Vgpr to one Vgpr
v_mfma_f32_32x32x8f16 a[0+0:15+0], v[vgprValuA_X3_I0+0+0+0:vgprValuA_X3_I0+0+0+0+1], v[vgprValuB_X2_I0+0+2+0:vgprValuB_X2_I0+0+2+0+1], a[0:15]
/*  mfmaIndex:49  */
/* pack scheduling: packAIdx:4, packBIdx:0 */
v_or_b32 v[vgprValuA_X3_I0+4], v[vgprValuA_X3_I0+4], v115 // pack two half Vgpr to one Vgpr
v_or_b32 v[vgprValuA_X3_I0+5], v[vgprValuA_X3_I0+5], v116 // pack two half Vgpr to one Vgpr
v_or_b32 v[vgprValuA_X3_I0+6], v[vgprValuA_X3_I0+6], v117 // pack two half Vgpr to one Vgpr
v_or_b32 v[vgprValuA_X3_I0+7], v[vgprValuA_X3_I0+7], v118 // pack two half Vgpr to one Vgpr
v_mfma_f32_32x32x8f16 a[16+0:31+0], v[vgprValuA_X3_I0+2+0+0:vgprValuA_X3_I0+2+0+0+1], v[vgprValuB_X2_I0+0+2+0:vgprValuB_X2_I0+0+2+0+1], a[16:31]
/*  mfmaIndex:50  */
v_mfma_f32_32x32x8f16 a[32+0:47+0], v[vgprValuA_X3_I0+4+0+0:vgprValuA_X3_I0+4+0+0+1], v[vgprValuB_X2_I0+0+2+0:vgprValuB_X2_I0+0+2+0+1], a[32:47]
/*  mfmaIndex:51  */
	;; [unrolled: 2-line block ×5, first 2 shown]
/* 1 LDS buffer: read-sync-write */
s_waitcnt lgkmcnt(0)                               // 
s_barrier                                          // 
v_mfma_f32_32x32x8f16 a[80+0:95+0], v[vgprValuA_X3_I0+2+0+0:vgprValuA_X3_I0+2+0+0+1], v[vgprValuB_X2_I0+4+2+0:vgprValuB_X2_I0+4+2+0+1], a[80:95]
/*  mfmaIndex:55  */
v_mfma_f32_32x32x8f16 a[64+0:79+0], v[vgprValuA_X3_I0+0+0+0:vgprValuA_X3_I0+0+0+0+1], v[vgprValuB_X2_I0+4+2+0:vgprValuB_X2_I0+4+2+0+1], a[64:79]
/*  mfmaIndex:56  */
	;; [unrolled: 2-line block ×9, first 2 shown]
v_mfma_f32_32x32x8f16 a[192+0:207+0], v[vgprValuA_X3_I0+0+0+0:vgprValuA_X3_I0+0+0+0+1], v[vgprValuB_X2_I0+12+2+0:vgprValuB_X2_I0+12+2+0+1], a[192:207]
/* numPrefetchIter=0 */
/* dataAtIterA=2 numReadsIterA=3 skipReadsIterA=0 readsPerIterA=16 */
/* dataAtIterB=0 numReadsIterB=1 skipReadsIterB=0 readsPerIterB=4 */

PrefetchGlobalLastIterEnd_5:


/******************************************/
/* Tail Loop                              */
/******************************************/


/* local write reset offsets a */


	;; [unrolled: 1-line block ×4, first 2 shown]
/* local write reset offsets b */


	;; [unrolled: 1-line block ×4, first 2 shown]
//numIterL = (((sizeL % LOCAL_DEPTHU) + LOCAL_SPLITU - 1) / LOCAL_SPLITU)
s_and_b32 s[sgprLoopCounterL], 31, s[sgprSizesSum+0] // s[sgprLoopCounterL] = s[sgprSizesSum+0] % 32
s_cmp_lg_u32 s[sgprGSUSumIdx], s[sgprGSUSumIdx+1]  // gsuSumIdx == numIterPerWgRemainder
s_cmov_b32 s[sgprLoopCounterL], 0x0                // numIter=0 if gsuSumIdx!=remainder
s_cmp_eq_u32 s[sgprLoopCounterL], 0x0              // numIterL == 0
s_cbranch_scc1 SkipTailLoopL_8                     // skip to end of tail loop b/c numIter==0
s_mov_b32 s[sgprOrigLoopCounter], 0                // repurpose to count each localRead increment


/* Update M0 for DTLDS */


	;; [unrolled: 1-line block ×3, first 2 shown]
/* global read a */

/* g2l=0, load component 0 */
_buffer_load_b32 v[vgprG2LA+0+0], v[vgprGlobalReadOffsetA+0], s[sgprSrdA:sgprSrdA+3], 0, offen offset:0 // load packed 2X buffer value
/* g2l=1, load component 0 */
_buffer_load_b32 v[vgprG2LA+1+0], v[vgprGlobalReadOffsetA+0], s[sgprSrdA:sgprSrdA+3], s[sgprScalarGlobalReadOffsetA+0], offen offset:0 // load packed 2X buffer value
/* g2l=2, load component 0 */
_buffer_load_b32 v[vgprG2LA+2+0], v[vgprGlobalReadOffsetA+0], s[sgprSrdA:sgprSrdA+3], s[sgprScalarGlobalReadOffsetA+1], offen offset:0 // load packed 2X buffer value
	;; [unrolled: 2-line block ×15, first 2 shown]


/* Update M0 for DTLDS */


	;; [unrolled: 1-line block ×3, first 2 shown]
/* global read b */

/* g2l=0, load component 0 */
_buffer_load_d16_b16 v[vgprG2LB+0+0], v[vgprGlobalReadOffsetB+0], s[sgprSrdB:sgprSrdB+3], 0, offen offset:0 // load one buffer value
/* g2l=0, load component 1 */
_buffer_load_d16_hi_b16 v103, v[vgprGlobalReadOffsetB+0], s[sgprSrdB:sgprSrdB+3], 0, offen offset:2 // load one buffer value
s_waitcnt vmcnt(0)
v_or_b32 v[vgprG2LB+0+0], v[vgprG2LB+0+0], v103 // HasEccHalf: pack
/* g2l=1, load component 0 */
_buffer_load_d16_b16 v[vgprG2LB+1+0], v[vgprGlobalReadOffsetB+0], s[sgprSrdB:sgprSrdB+3], s[sgprScalarGlobalReadOffsetB+0], offen offset:0 // load one buffer value
/* g2l=1, load component 1 */
_buffer_load_d16_hi_b16 v103, v[vgprGlobalReadOffsetB+0], s[sgprSrdB:sgprSrdB+3], s[sgprScalarGlobalReadOffsetB+0], offen offset:2 // load one buffer value
s_waitcnt vmcnt(0)
v_or_b32 v[vgprG2LB+1+0], v[vgprG2LB+1+0], v103 // HasEccHalf: pack
/* g2l=2, load component 0 */
_buffer_load_d16_b16 v[vgprG2LB+2+0], v[vgprGlobalReadOffsetB+0], s[sgprSrdB:sgprSrdB+3], s[sgprScalarGlobalReadOffsetB+1], offen offset:0 // load one buffer value
/* g2l=2, load component 1 */
_buffer_load_d16_hi_b16 v103, v[vgprGlobalReadOffsetB+0], s[sgprSrdB:sgprSrdB+3], s[sgprScalarGlobalReadOffsetB+1], offen offset:2 // load one buffer value
	;; [unrolled: 6-line block ×15, first 2 shown]
s_waitcnt vmcnt(0)
v_or_b32 v[vgprG2LB+15+0], v[vgprG2LB+15+0], v103 // HasEccHalf: pack

s_waitcnt vmcnt(0)                                 // lgkmcnt=-1 vmcnt=02wait for global read

s_waitcnt lgkmcnt(0) & vmcnt(0)                    // force waitcnt0
s_barrier //


/* Done global A/B reads */


	;; [unrolled: 1-line block ×4, first 2 shown]
/* local write a */

_ds_store_b32 v[vgprLocalWriteAddrA], v[vgprG2LA+0] offset:0 // lwoA_0_0_0_0 = (0*LSCA) + (0*LSPA)(*MT0I+PAD) = 0
_ds_store_b32 v[vgprLocalWriteAddrA], v[vgprG2LA+1] offset:256 // lwoA_1_0_0_0 = (1*LSCA) + (0*LSPA)(*MT0I+PAD) = 256
_ds_store_b32 v[vgprLocalWriteAddrA], v[vgprG2LA+2] offset:512 // lwoA_0_0_1_0 = (0*LSCA) + (1*LSPA)(*MT0I+PAD) = 512
_ds_store_b32 v[vgprLocalWriteAddrA], v[vgprG2LA+3] offset:768 // lwoA_1_0_1_0 = (1*LSCA) + (1*LSPA)(*MT0I+PAD) = 768
_ds_store_b32 v[vgprLocalWriteAddrA], v[vgprG2LA+4] offset:1024 // lwoA_0_0_2_0 = (0*LSCA) + (2*LSPA)(*MT0I+PAD) = 1024
_ds_store_b32 v[vgprLocalWriteAddrA], v[vgprG2LA+5] offset:1280 // lwoA_1_0_2_0 = (1*LSCA) + (2*LSPA)(*MT0I+PAD) = 1280
_ds_store_b32 v[vgprLocalWriteAddrA], v[vgprG2LA+6] offset:1536 // lwoA_0_0_3_0 = (0*LSCA) + (3*LSPA)(*MT0I+PAD) = 1536
_ds_store_b32 v[vgprLocalWriteAddrA], v[vgprG2LA+7] offset:1792 // lwoA_1_0_3_0 = (1*LSCA) + (3*LSPA)(*MT0I+PAD) = 1792
_ds_store_b32 v[vgprLocalWriteAddrA], v[vgprG2LA+8] offset:2048 // lwoA_0_0_4_0 = (0*LSCA) + (4*LSPA)(*MT0I+PAD) = 2048
_ds_store_b32 v[vgprLocalWriteAddrA], v[vgprG2LA+9] offset:2304 // lwoA_1_0_4_0 = (1*LSCA) + (4*LSPA)(*MT0I+PAD) = 2304
_ds_store_b32 v[vgprLocalWriteAddrA], v[vgprG2LA+10] offset:2560 // lwoA_0_0_5_0 = (0*LSCA) + (5*LSPA)(*MT0I+PAD) = 2560
_ds_store_b32 v[vgprLocalWriteAddrA], v[vgprG2LA+11] offset:2816 // lwoA_1_0_5_0 = (1*LSCA) + (5*LSPA)(*MT0I+PAD) = 2816
_ds_store_b32 v[vgprLocalWriteAddrA], v[vgprG2LA+12] offset:3072 // lwoA_0_0_6_0 = (0*LSCA) + (6*LSPA)(*MT0I+PAD) = 3072
_ds_store_b32 v[vgprLocalWriteAddrA], v[vgprG2LA+13] offset:3328 // lwoA_1_0_6_0 = (1*LSCA) + (6*LSPA)(*MT0I+PAD) = 3328
_ds_store_b32 v[vgprLocalWriteAddrA], v[vgprG2LA+14] offset:3584 // lwoA_0_0_7_0 = (0*LSCA) + (7*LSPA)(*MT0I+PAD) = 3584
_ds_store_b32 v[vgprLocalWriteAddrA], v[vgprG2LA+15] offset:3840 // lwoA_1_0_7_0 = (1*LSCA) + (7*LSPA)(*MT0I+PAD) = 3840


/* local write b */

_ds_store_b32 v[vgprLocalWriteAddrB], v[vgprG2LB+0] offset:0 // lwoB_0_0_0_0 = (0*LSCB)*(MT1J+PAD) + (0*LSPB) = 0
_ds_store_b32 v[vgprLocalWriteAddrB], v[vgprG2LB+1] offset:288 // lwoB_0_0_1_0 = (0*LSCB)*(MT1J+PAD) + (1*LSPB) = 288
_ds_store_b32 v[vgprLocalWriteAddrB], v[vgprG2LB+2] offset:576 // lwoB_0_0_2_0 = (0*LSCB)*(MT1J+PAD) + (2*LSPB) = 576
_ds_store_b32 v[vgprLocalWriteAddrB], v[vgprG2LB+3] offset:864 // lwoB_0_0_3_0 = (0*LSCB)*(MT1J+PAD) + (3*LSPB) = 864
_ds_store_b32 v[vgprLocalWriteAddrB], v[vgprG2LB+4] offset:1152 // lwoB_0_0_4_0 = (0*LSCB)*(MT1J+PAD) + (4*LSPB) = 1152
_ds_store_b32 v[vgprLocalWriteAddrB], v[vgprG2LB+5] offset:1440 // lwoB_0_0_5_0 = (0*LSCB)*(MT1J+PAD) + (5*LSPB) = 1440
_ds_store_b32 v[vgprLocalWriteAddrB], v[vgprG2LB+6] offset:1728 // lwoB_0_0_6_0 = (0*LSCB)*(MT1J+PAD) + (6*LSPB) = 1728
_ds_store_b32 v[vgprLocalWriteAddrB], v[vgprG2LB+7] offset:2016 // lwoB_0_0_7_0 = (0*LSCB)*(MT1J+PAD) + (7*LSPB) = 2016
_ds_store_b32 v[vgprLocalWriteAddrB], v[vgprG2LB+8] offset:2304 // lwoB_0_0_8_0 = (0*LSCB)*(MT1J+PAD) + (8*LSPB) = 2304
_ds_store_b32 v[vgprLocalWriteAddrB], v[vgprG2LB+9] offset:2592 // lwoB_0_0_9_0 = (0*LSCB)*(MT1J+PAD) + (9*LSPB) = 2592
_ds_store_b32 v[vgprLocalWriteAddrB], v[vgprG2LB+10] offset:2880 // lwoB_0_0_10_0 = (0*LSCB)*(MT1J+PAD) + (10*LSPB) = 2880
_ds_store_b32 v[vgprLocalWriteAddrB], v[vgprG2LB+11] offset:3168 // lwoB_0_0_11_0 = (0*LSCB)*(MT1J+PAD) + (11*LSPB) = 3168
_ds_store_b32 v[vgprLocalWriteAddrB], v[vgprG2LB+12] offset:3456 // lwoB_0_0_12_0 = (0*LSCB)*(MT1J+PAD) + (12*LSPB) = 3456
_ds_store_b32 v[vgprLocalWriteAddrB], v[vgprG2LB+13] offset:3744 // lwoB_0_0_13_0 = (0*LSCB)*(MT1J+PAD) + (13*LSPB) = 3744
_ds_store_b32 v[vgprLocalWriteAddrB], v[vgprG2LB+14] offset:4032 // lwoB_0_0_14_0 = (0*LSCB)*(MT1J+PAD) + (14*LSPB) = 4032
_ds_store_b32 v[vgprLocalWriteAddrB], v[vgprG2LB+15] offset:4320 // lwoB_0_0_15_0 = (0*LSCB)*(MT1J+PAD) + (15*LSPB) = 4320


/* Recalc local read offsets */

/*lr0I*/
v_and_b32 v104, 63, v[vgprSerial]                  // 0. thread id in wave: wtid = tid % wavelength(64)
v_and_b32 v103, 31, v104                           // 1. N offset: nIdx = wtid % MI_N(32)
                                                   // 1. N offset: nOffset = nIdx * nStride(1) (multiplier is 1, do nothing)
                                                   // 2. block offset: bnIdx = bnIdx % num1DBlocks(1) is 0. do nothing
v_lshlrev_b32 v103, 0x1, v103                      // 4. apply VectorWidth: bnOffset = bnOffset * vw(2)
v_lshrrev_b32 v104, 5, v104                        // 5. K offset: kIdx = wtid / (MIN(32) * MIBB(1))
v_lshlrev_b32 v104, 0xa, v104                      // 5. K offset: lrKOffset = kIdx * mStride(1024)
_v_add_u32 v103, v104, v103                        // 6. offset in wave: lrOffset = bnOffset + lrKOffset
v_lshrrev_b32 v105, 6, v[vgprSerial]               // 7. wave offset in N dimen: wtid = tid / dividedForWaveId(64)
v_and_b32 v104, 1, v105                            // 7. wave offset in M dimen: wtid0 = wtid / num1DWaves(2)
v_lshlrev_b32 v104, 0x6, v104                      // 7. wave offset in M dimen: wOffset = wtid0 * W0Stride(64)
_v_add_u32 v103, v104, v103                        // 8. final local read offset: flrOffset = lrOffset + WOffset
/*lr1J*/
v_and_b32 v105, 63, v[vgprSerial]                  // 0. thread id in wave: wtid = tid % wavelength(64)
v_and_b32 v104, 31, v105                           // 1. N offset: nIdx = wtid % MI_N(32)
v_lshlrev_b32 v104, 0x5, v104                      // 1. N offset: nOffset = nIdx * nStride(32)
                                                   // 2. block offset: bnIdx = bnIdx % num1DBlocks(1) is 0. do nothing
v_lshlrev_b32 v104, 0x1, v104                      // 4. apply VectorWidth: bnOffset = bnOffset * vw(2)
v_lshrrev_b32 v105, 5, v105                        // 5. K offset: kIdx = wtid / (MIN(32) * MIBB(1))
v_lshlrev_b32 v105, 0x2, v105                      // 5. K offset: lrKOffset = kIdx * mStride(4)
_v_add_u32 v104, v105, v104                        // 6. offset in wave: lrOffset = bnOffset + lrKOffset
v_lshrrev_b32 v106, 7, v[vgprSerial]               // 7. wave offset in N dimen: wtid = tid / dividedForWaveId(128)
v_and_b32 v105, 1, v106                            // 7. wave offset in M dimen: wtid0 = wtid / num1DWaves(2)
v_lshlrev_b32 v105, 0xb, v105                      // 7. wave offset in M dimen: wOffset = wtid0 * W0Stride(2048)
_v_add_u32 v104, v105, v104                        // 8. final local read offset: flrOffset = lrOffset + WOffset
v_lshlrev_b32 v[vgprLocalReadAddrA], 0x1, v103     // Final Offset: offset = (lro0)*bpe
/* N/A */
v_lshlrev_b32 v[vgprLocalReadAddrB], 0x1, v104     // Final Offset: offset = (lro1)*bpe
v_lshrrev_b32 v103, 7, v[vgprLocalReadAddrB]       // Final Offset: padding 8 per block 128
v_lshlrev_b32 v103, 0x4, v103                      // Final Offset: padding 8 per block 128
_v_add_u32 v[vgprLocalReadAddrB], v103, v[vgprLocalReadAddrB] // Final Offset: add padding 8 per block 128
_v_add_co_u32 v[vgprLocalReadAddrB+0], vcc, 0x4000, v[vgprLocalReadAddrB+0] //  += LdsOffsetB (lower)

s_waitcnt lgkmcnt(0)                               // lgkmcnt=0 vmcnt=-15wait for local write

s_waitcnt lgkmcnt(0) & vmcnt(0)                    // force waitcnt0
s_barrier //


/* local read reset offsets a */


	;; [unrolled: 1-line block ×3, first 2 shown]
/* local read reset offsets b */


	;; [unrolled: 1-line block ×3, first 2 shown]
/* local read init pointers a */


/* localReadInitPointers */


/* local read init pointers b */


/* localReadInitPointers */


/* tail loop: macs */

TailLoopBeginL_6:


/* tail loop unroll iter 0 */


/* local read a */

_ds_load_u16 v[vgprValuA_X0_I0+0], v[vgprLocalReadAddrA] offset:0 // L -> Reg lro=0 swapByteOffset=0 ti=128 vIdx=0 rIdx=0 oIdx=0 buffer=0 iui=0
_ds_load_u16_d16_hi v103, v[vgprLocalReadAddrA] offset:512 // L -> Reg lro=0 swapByteOffset=0 ti=128 vIdx=0 rIdx=1 oIdx=0 buffer=0 iui=0
_ds_load_u16 v[vgprValuA_X0_I0+1], v[vgprLocalReadAddrA] offset:1024 // L -> Reg lro=0 swapByteOffset=0 ti=128 vIdx=0 rIdx=2 oIdx=0 buffer=0 iui=0
_ds_load_u16_d16_hi v104, v[vgprLocalReadAddrA] offset:1536 // L -> Reg lro=0 swapByteOffset=0 ti=128 vIdx=0 rIdx=3 oIdx=0 buffer=0 iui=0
	;; [unrolled: 2-line block ×8, first 2 shown]


/* local read b */

_ds_load_b64 v[vgprValuB_X0_I0+0:vgprValuB_X0_I0+0+1], v[vgprLocalReadAddrB] offset:0 // L -> Reg lro=0 swapByteOffset=0 ti=128 vIdx=0 rIdx=0 oIdx=0 buffer=0 iui=0
_ds_load_b64 v[vgprValuB_X0_I0+2:vgprValuB_X0_I0+2+1], v[vgprLocalReadAddrB] offset:64 // L -> Reg lro=0 swapByteOffset=0 ti=128 vIdx=0 rIdx=0 oIdx=0 buffer=0 iui=0
	;; [unrolled: 1-line block ×4, first 2 shown]


/* local read inc a */

s_mov_b32 s10, 0x1000                              // inc
_v_add_co_u32 v[vgprLocalReadAddrA], vcc, s10, v[vgprLocalReadAddrA] // lrA += 4096 (LSU*(MT+PAD)*bpe)


/* local read inc b */

s_mov_b32 s10, 0x10                                // inc
_v_add_co_u32 v[vgprLocalReadAddrB], vcc, s10, v[vgprLocalReadAddrB] // lrB += 16 (LSU*bpe)

s_waitcnt lgkmcnt(0)                               // lgkmcnt=0 vmcnt=-14wait for local read

v_or_b32 v[vgprValuA_X0_I0+0], v[vgprValuA_X0_I0+0], v103 // pack two half Vgpr to one Vgpr
v_or_b32 v[vgprValuA_X0_I0+1], v[vgprValuA_X0_I0+1], v104 // pack two half Vgpr to one Vgpr
	;; [unrolled: 1-line block ×8, first 2 shown]


/* tail loop mfma iter 0: numReadsIterCoalescedA=1, numReadsIterCoalescedB=1 */
v_and_b32 v103, 63, v[vgprSerial]                  // v103 = v[vgprSerial] % 64
v_lshrrev_b32 v103, 5, v103                        // v103 = v103 / 32
v_lshlrev_b32 v103, 0x2, v103                      // v103 = v103 * 4
v_cmp_ge_i32 s[36:37], v103, s[sgprLoopCounterL]   // check K index >= Size L
v_cndmask_b32 v[vgprValuB_X0_I0+0+0+0+0], v[vgprValuB_X0_I0+0+0+0+0], 0x0, s[36:37] // set 0 if K_idx >= sizeL
v_cndmask_b32 v[vgprValuB_X0_I0+2+0+0+0], v[vgprValuB_X0_I0+2+0+0+0], 0x0, s[36:37] // set 0 if K_idx >= sizeL
	;; [unrolled: 1-line block ×8, first 2 shown]
_v_sub_u32 v103, s[sgprLoopCounterL], v103         // get distance between size and k index
v_cmp_lt_i32 s[36:37], v103, 4                     // set partial 0 if distance less than input per thread
s_and_b32 s38, s[sgprLoopCounterL], 3              // get inputs for edge thread
s_sub_u32 s38, 4, s38                              // use shift to fill 0 for outside element
s_lshl_b32 s38, s38, 4                             // use shift to fill 0 for outside element
v_mov_b32 v104, -1                                 // set 0xffffffff
v_mov_b32 v105, -1                                 // set 0xffffffff
v_lshrrev_b64 v[104:105], s38, v[104:105]          // rshift mask for partial k
v_cndmask_b32 v104, -1, v104, s[36:37]             // select shifted mask for partial k
v_cndmask_b32 v105, -1, v105, s[36:37]             // select shifted mask for partial k
v_and_b32 v[vgprValuB_X0_I0+0+0+0+0], v[vgprValuB_X0_I0+0+0+0+0], v104 // 
v_and_b32 v[vgprValuB_X0_I0+0+0+0+1], v[vgprValuB_X0_I0+0+0+0+1], v105 // 
	;; [unrolled: 1-line block ×8, first 2 shown]
s_nop 1
v_mfma_f32_32x32x8f16 a[0+0:15+0], v[vgprValuA_X0_I0+0+0+0:vgprValuA_X0_I0+0+0+0+1], v[vgprValuB_X0_I0+0+0+0:vgprValuB_X0_I0+0+0+0+1], a[0:15]
v_mfma_f32_32x32x8f16 a[16+0:31+0], v[vgprValuA_X0_I0+2+0+0:vgprValuA_X0_I0+2+0+0+1], v[vgprValuB_X0_I0+0+0+0:vgprValuB_X0_I0+0+0+0+1], a[16:31]
	;; [unrolled: 1-line block ×16, first 2 shown]


/* closeLoop loopL finalLoop=0 tailLoop=1 */
s_sub_i32 s[sgprLoopCounterL], s[sgprLoopCounterL], 0x8 // dec counterL (tailLoop)
s_add_u32 s[sgprOrigLoopCounter], s[sgprOrigLoopCounter], 0x8 // inc counterL
s_cmp_le_i32 s[sgprLoopCounterL], 0x0              // counterL<=0
s_cbranch_scc1 TailLoopEndL_7                      // exit LoopL


/* tail loop unroll iter 1 */


/* local read a */

_ds_load_u16 v[vgprValuA_X1_I0+0], v[vgprLocalReadAddrA] offset:0 // L -> Reg lro=0 swapByteOffset=0 ti=128 vIdx=0 rIdx=0 oIdx=0 buffer=1 iui=0
_ds_load_u16_d16_hi v103, v[vgprLocalReadAddrA] offset:512 // L -> Reg lro=0 swapByteOffset=0 ti=128 vIdx=0 rIdx=1 oIdx=0 buffer=1 iui=0
_ds_load_u16 v[vgprValuA_X1_I0+1], v[vgprLocalReadAddrA] offset:1024 // L -> Reg lro=0 swapByteOffset=0 ti=128 vIdx=0 rIdx=2 oIdx=0 buffer=1 iui=0
_ds_load_u16_d16_hi v104, v[vgprLocalReadAddrA] offset:1536 // L -> Reg lro=0 swapByteOffset=0 ti=128 vIdx=0 rIdx=3 oIdx=0 buffer=1 iui=0
	;; [unrolled: 2-line block ×8, first 2 shown]


/* local read b */

_ds_load_b64 v[vgprValuB_X1_I0+0:vgprValuB_X1_I0+0+1], v[vgprLocalReadAddrB] offset:0 // L -> Reg lro=0 swapByteOffset=0 ti=128 vIdx=0 rIdx=0 oIdx=0 buffer=1 iui=0
_ds_load_b64 v[vgprValuB_X1_I0+2:vgprValuB_X1_I0+2+1], v[vgprLocalReadAddrB] offset:64 // L -> Reg lro=0 swapByteOffset=0 ti=128 vIdx=0 rIdx=0 oIdx=0 buffer=1 iui=0
	;; [unrolled: 1-line block ×4, first 2 shown]


/* local read inc a */

s_mov_b32 s10, 0x1000                              // inc
_v_add_co_u32 v[vgprLocalReadAddrA], vcc, s10, v[vgprLocalReadAddrA] // lrA += 4096 (LSU*(MT+PAD)*bpe)


/* local read inc b */

s_mov_b32 s10, 0x10                                // inc
_v_add_co_u32 v[vgprLocalReadAddrB], vcc, s10, v[vgprLocalReadAddrB] // lrB += 16 (LSU*bpe)

s_waitcnt lgkmcnt(0)                               // lgkmcnt=0 vmcnt=-14wait for local read

v_or_b32 v[vgprValuA_X1_I0+0], v[vgprValuA_X1_I0+0], v103 // pack two half Vgpr to one Vgpr
v_or_b32 v[vgprValuA_X1_I0+1], v[vgprValuA_X1_I0+1], v104 // pack two half Vgpr to one Vgpr
	;; [unrolled: 1-line block ×8, first 2 shown]


/* tail loop mfma iter 1: numReadsIterCoalescedA=1, numReadsIterCoalescedB=1 */
v_and_b32 v103, 63, v[vgprSerial]                  // v103 = v[vgprSerial] % 64
v_lshrrev_b32 v103, 5, v103                        // v103 = v103 / 32
v_lshlrev_b32 v103, 0x2, v103                      // v103 = v103 * 4
v_cmp_ge_i32 s[36:37], v103, s[sgprLoopCounterL]   // check K index >= Size L
v_cndmask_b32 v[vgprValuB_X1_I0+0+0+0+0], v[vgprValuB_X1_I0+0+0+0+0], 0x0, s[36:37] // set 0 if K_idx >= sizeL
v_cndmask_b32 v[vgprValuB_X1_I0+2+0+0+0], v[vgprValuB_X1_I0+2+0+0+0], 0x0, s[36:37] // set 0 if K_idx >= sizeL
	;; [unrolled: 1-line block ×8, first 2 shown]
_v_sub_u32 v103, s[sgprLoopCounterL], v103         // get distance between size and k index
v_cmp_lt_i32 s[36:37], v103, 4                     // set partial 0 if distance less than input per thread
s_and_b32 s38, s[sgprLoopCounterL], 3              // get inputs for edge thread
s_sub_u32 s38, 4, s38                              // use shift to fill 0 for outside element
s_lshl_b32 s38, s38, 4                             // use shift to fill 0 for outside element
v_mov_b32 v104, -1                                 // set 0xffffffff
v_mov_b32 v105, -1                                 // set 0xffffffff
v_lshrrev_b64 v[104:105], s38, v[104:105]          // rshift mask for partial k
v_cndmask_b32 v104, -1, v104, s[36:37]             // select shifted mask for partial k
v_cndmask_b32 v105, -1, v105, s[36:37]             // select shifted mask for partial k
v_and_b32 v[vgprValuB_X1_I0+0+0+0+0], v[vgprValuB_X1_I0+0+0+0+0], v104 // 
v_and_b32 v[vgprValuB_X1_I0+0+0+0+1], v[vgprValuB_X1_I0+0+0+0+1], v105 // 
	;; [unrolled: 1-line block ×8, first 2 shown]
s_nop 1
v_mfma_f32_32x32x8f16 a[0+0:15+0], v[vgprValuA_X1_I0+0+0+0:vgprValuA_X1_I0+0+0+0+1], v[vgprValuB_X1_I0+0+0+0:vgprValuB_X1_I0+0+0+0+1], a[0:15]
v_mfma_f32_32x32x8f16 a[16+0:31+0], v[vgprValuA_X1_I0+2+0+0:vgprValuA_X1_I0+2+0+0+1], v[vgprValuB_X1_I0+0+0+0:vgprValuB_X1_I0+0+0+0+1], a[16:31]
	;; [unrolled: 1-line block ×16, first 2 shown]


/* closeLoop loopL finalLoop=0 tailLoop=1 */
s_sub_i32 s[sgprLoopCounterL], s[sgprLoopCounterL], 0x8 // dec counterL (tailLoop)
s_add_u32 s[sgprOrigLoopCounter], s[sgprOrigLoopCounter], 0x8 // inc counterL
s_cmp_le_i32 s[sgprLoopCounterL], 0x0              // counterL<=0
s_cbranch_scc1 TailLoopEndL_7                      // exit LoopL


/* tail loop unroll iter 2 */


/* local read a */

_ds_load_u16 v[vgprValuA_X2_I0+0], v[vgprLocalReadAddrA] offset:0 // L -> Reg lro=0 swapByteOffset=0 ti=128 vIdx=0 rIdx=0 oIdx=0 buffer=2 iui=0
_ds_load_u16_d16_hi v103, v[vgprLocalReadAddrA] offset:512 // L -> Reg lro=0 swapByteOffset=0 ti=128 vIdx=0 rIdx=1 oIdx=0 buffer=2 iui=0
_ds_load_u16 v[vgprValuA_X2_I0+1], v[vgprLocalReadAddrA] offset:1024 // L -> Reg lro=0 swapByteOffset=0 ti=128 vIdx=0 rIdx=2 oIdx=0 buffer=2 iui=0
_ds_load_u16_d16_hi v104, v[vgprLocalReadAddrA] offset:1536 // L -> Reg lro=0 swapByteOffset=0 ti=128 vIdx=0 rIdx=3 oIdx=0 buffer=2 iui=0
	;; [unrolled: 2-line block ×8, first 2 shown]


/* local read b */

_ds_load_b64 v[vgprValuB_X2_I0+0:vgprValuB_X2_I0+0+1], v[vgprLocalReadAddrB] offset:0 // L -> Reg lro=0 swapByteOffset=0 ti=128 vIdx=0 rIdx=0 oIdx=0 buffer=2 iui=0
_ds_load_b64 v[vgprValuB_X2_I0+2:vgprValuB_X2_I0+2+1], v[vgprLocalReadAddrB] offset:64 // L -> Reg lro=0 swapByteOffset=0 ti=128 vIdx=0 rIdx=0 oIdx=0 buffer=2 iui=0
	;; [unrolled: 1-line block ×4, first 2 shown]


/* local read inc a */

s_mov_b32 s10, 0x1000                              // inc
_v_add_co_u32 v[vgprLocalReadAddrA], vcc, s10, v[vgprLocalReadAddrA] // lrA += 4096 (LSU*(MT+PAD)*bpe)


/* local read inc b */

s_mov_b32 s10, 0x10                                // inc
_v_add_co_u32 v[vgprLocalReadAddrB], vcc, s10, v[vgprLocalReadAddrB] // lrB += 16 (LSU*bpe)

s_waitcnt lgkmcnt(0)                               // lgkmcnt=0 vmcnt=-14wait for local read

v_or_b32 v[vgprValuA_X2_I0+0], v[vgprValuA_X2_I0+0], v103 // pack two half Vgpr to one Vgpr
v_or_b32 v[vgprValuA_X2_I0+1], v[vgprValuA_X2_I0+1], v104 // pack two half Vgpr to one Vgpr
	;; [unrolled: 1-line block ×8, first 2 shown]


/* tail loop mfma iter 2: numReadsIterCoalescedA=1, numReadsIterCoalescedB=1 */
v_and_b32 v103, 63, v[vgprSerial]                  // v103 = v[vgprSerial] % 64
v_lshrrev_b32 v103, 5, v103                        // v103 = v103 / 32
v_lshlrev_b32 v103, 0x2, v103                      // v103 = v103 * 4
v_cmp_ge_i32 s[36:37], v103, s[sgprLoopCounterL]   // check K index >= Size L
v_cndmask_b32 v[vgprValuB_X2_I0+0+0+0+0], v[vgprValuB_X2_I0+0+0+0+0], 0x0, s[36:37] // set 0 if K_idx >= sizeL
v_cndmask_b32 v[vgprValuB_X2_I0+2+0+0+0], v[vgprValuB_X2_I0+2+0+0+0], 0x0, s[36:37] // set 0 if K_idx >= sizeL
	;; [unrolled: 1-line block ×8, first 2 shown]
_v_sub_u32 v103, s[sgprLoopCounterL], v103         // get distance between size and k index
v_cmp_lt_i32 s[36:37], v103, 4                     // set partial 0 if distance less than input per thread
s_and_b32 s38, s[sgprLoopCounterL], 3              // get inputs for edge thread
s_sub_u32 s38, 4, s38                              // use shift to fill 0 for outside element
s_lshl_b32 s38, s38, 4                             // use shift to fill 0 for outside element
v_mov_b32 v104, -1                                 // set 0xffffffff
v_mov_b32 v105, -1                                 // set 0xffffffff
v_lshrrev_b64 v[104:105], s38, v[104:105]          // rshift mask for partial k
v_cndmask_b32 v104, -1, v104, s[36:37]             // select shifted mask for partial k
v_cndmask_b32 v105, -1, v105, s[36:37]             // select shifted mask for partial k
v_and_b32 v[vgprValuB_X2_I0+0+0+0+0], v[vgprValuB_X2_I0+0+0+0+0], v104 // 
v_and_b32 v[vgprValuB_X2_I0+0+0+0+1], v[vgprValuB_X2_I0+0+0+0+1], v105 // 
	;; [unrolled: 1-line block ×8, first 2 shown]
s_nop 1
v_mfma_f32_32x32x8f16 a[0+0:15+0], v[vgprValuA_X2_I0+0+0+0:vgprValuA_X2_I0+0+0+0+1], v[vgprValuB_X2_I0+0+0+0:vgprValuB_X2_I0+0+0+0+1], a[0:15]
v_mfma_f32_32x32x8f16 a[16+0:31+0], v[vgprValuA_X2_I0+2+0+0:vgprValuA_X2_I0+2+0+0+1], v[vgprValuB_X2_I0+0+0+0:vgprValuB_X2_I0+0+0+0+1], a[16:31]
	;; [unrolled: 1-line block ×16, first 2 shown]


/* closeLoop loopL finalLoop=0 tailLoop=1 */
s_sub_i32 s[sgprLoopCounterL], s[sgprLoopCounterL], 0x8 // dec counterL (tailLoop)
s_add_u32 s[sgprOrigLoopCounter], s[sgprOrigLoopCounter], 0x8 // inc counterL
s_cmp_le_i32 s[sgprLoopCounterL], 0x0              // counterL<=0
s_cbranch_scc1 TailLoopEndL_7                      // exit LoopL


/* tail loop unroll iter 3 */


/* local read a */

_ds_load_u16 v[vgprValuA_X3_I0+0], v[vgprLocalReadAddrA] offset:0 // L -> Reg lro=0 swapByteOffset=0 ti=128 vIdx=0 rIdx=0 oIdx=0 buffer=3 iui=0
_ds_load_u16_d16_hi v103, v[vgprLocalReadAddrA] offset:512 // L -> Reg lro=0 swapByteOffset=0 ti=128 vIdx=0 rIdx=1 oIdx=0 buffer=3 iui=0
_ds_load_u16 v[vgprValuA_X3_I0+1], v[vgprLocalReadAddrA] offset:1024 // L -> Reg lro=0 swapByteOffset=0 ti=128 vIdx=0 rIdx=2 oIdx=0 buffer=3 iui=0
_ds_load_u16_d16_hi v104, v[vgprLocalReadAddrA] offset:1536 // L -> Reg lro=0 swapByteOffset=0 ti=128 vIdx=0 rIdx=3 oIdx=0 buffer=3 iui=0
	;; [unrolled: 2-line block ×8, first 2 shown]


/* local read b */

_ds_load_b64 v[vgprValuB_X3_I0+0:vgprValuB_X3_I0+0+1], v[vgprLocalReadAddrB] offset:0 // L -> Reg lro=0 swapByteOffset=0 ti=128 vIdx=0 rIdx=0 oIdx=0 buffer=3 iui=0
_ds_load_b64 v[vgprValuB_X3_I0+2:vgprValuB_X3_I0+2+1], v[vgprLocalReadAddrB] offset:64 // L -> Reg lro=0 swapByteOffset=0 ti=128 vIdx=0 rIdx=0 oIdx=0 buffer=3 iui=0
	;; [unrolled: 1-line block ×4, first 2 shown]


/* local read inc a */

s_mov_b32 s10, 0x1000                              // inc
_v_add_co_u32 v[vgprLocalReadAddrA], vcc, s10, v[vgprLocalReadAddrA] // lrA += 4096 (LSU*(MT+PAD)*bpe)


/* local read inc b */

s_mov_b32 s10, 0x10                                // inc
_v_add_co_u32 v[vgprLocalReadAddrB], vcc, s10, v[vgprLocalReadAddrB] // lrB += 16 (LSU*bpe)

s_waitcnt lgkmcnt(0)                               // lgkmcnt=0 vmcnt=-14wait for local read

v_or_b32 v[vgprValuA_X3_I0+0], v[vgprValuA_X3_I0+0], v103 // pack two half Vgpr to one Vgpr
v_or_b32 v[vgprValuA_X3_I0+1], v[vgprValuA_X3_I0+1], v104 // pack two half Vgpr to one Vgpr
	;; [unrolled: 1-line block ×8, first 2 shown]


/* tail loop mfma iter 3: numReadsIterCoalescedA=1, numReadsIterCoalescedB=1 */
v_and_b32 v103, 63, v[vgprSerial]                  // v103 = v[vgprSerial] % 64
v_lshrrev_b32 v103, 5, v103                        // v103 = v103 / 32
v_lshlrev_b32 v103, 0x2, v103                      // v103 = v103 * 4
v_cmp_ge_i32 s[36:37], v103, s[sgprLoopCounterL]   // check K index >= Size L
v_cndmask_b32 v[vgprValuB_X3_I0+0+0+0+0], v[vgprValuB_X3_I0+0+0+0+0], 0x0, s[36:37] // set 0 if K_idx >= sizeL
v_cndmask_b32 v[vgprValuB_X3_I0+2+0+0+0], v[vgprValuB_X3_I0+2+0+0+0], 0x0, s[36:37] // set 0 if K_idx >= sizeL
v_cndmask_b32 v[vgprValuB_X3_I0+4+0+0+0], v[vgprValuB_X3_I0+4+0+0+0], 0x0, s[36:37] // set 0 if K_idx >= sizeL
v_cndmask_b32 v[vgprValuB_X3_I0+6+0+0+0], v[vgprValuB_X3_I0+6+0+0+0], 0x0, s[36:37] // set 0 if K_idx >= sizeL
v_cndmask_b32 v[vgprValuB_X3_I0+0+0+0+1], v[vgprValuB_X3_I0+0+0+0+1], 0x0, s[36:37] // set 0 if K_idx >= sizeL
v_cndmask_b32 v[vgprValuB_X3_I0+2+0+0+1], v[vgprValuB_X3_I0+2+0+0+1], 0x0, s[36:37] // set 0 if K_idx >= sizeL
v_cndmask_b32 v[vgprValuB_X3_I0+4+0+0+1], v[vgprValuB_X3_I0+4+0+0+1], 0x0, s[36:37] // set 0 if K_idx >= sizeL
v_cndmask_b32 v[vgprValuB_X3_I0+6+0+0+1], v[vgprValuB_X3_I0+6+0+0+1], 0x0, s[36:37] // set 0 if K_idx >= sizeL
_v_sub_u32 v103, s[sgprLoopCounterL], v103         // get distance between size and k index
v_cmp_lt_i32 s[36:37], v103, 4                     // set partial 0 if distance less than input per thread
s_and_b32 s38, s[sgprLoopCounterL], 3              // get inputs for edge thread
s_sub_u32 s38, 4, s38                              // use shift to fill 0 for outside element
s_lshl_b32 s38, s38, 4                             // use shift to fill 0 for outside element
v_mov_b32 v104, -1                                 // set 0xffffffff
v_mov_b32 v105, -1                                 // set 0xffffffff
v_lshrrev_b64 v[104:105], s38, v[104:105]          // rshift mask for partial k
v_cndmask_b32 v104, -1, v104, s[36:37]             // select shifted mask for partial k
v_cndmask_b32 v105, -1, v105, s[36:37]             // select shifted mask for partial k
v_and_b32 v[vgprValuB_X3_I0+0+0+0+0], v[vgprValuB_X3_I0+0+0+0+0], v104 // 
v_and_b32 v[vgprValuB_X3_I0+0+0+0+1], v[vgprValuB_X3_I0+0+0+0+1], v105 // 
	;; [unrolled: 1-line block ×8, first 2 shown]
s_nop 1
v_mfma_f32_32x32x8f16 a[0+0:15+0], v[vgprValuA_X3_I0+0+0+0:vgprValuA_X3_I0+0+0+0+1], v[vgprValuB_X3_I0+0+0+0:vgprValuB_X3_I0+0+0+0+1], a[0:15]
v_mfma_f32_32x32x8f16 a[16+0:31+0], v[vgprValuA_X3_I0+2+0+0:vgprValuA_X3_I0+2+0+0+1], v[vgprValuB_X3_I0+0+0+0:vgprValuB_X3_I0+0+0+0+1], a[16:31]
	;; [unrolled: 1-line block ×16, first 2 shown]


/* closeLoop loopL finalLoop=1 tailLoop=1 */
s_sub_i32 s[sgprLoopCounterL], s[sgprLoopCounterL], 0x8 // dec counterL (tailLoop)
s_add_u32 s[sgprOrigLoopCounter], s[sgprOrigLoopCounter], 0x8 // inc counterL
s_cmp_le_i32 s[sgprLoopCounterL], 0x0              // counterL<=0
s_cbranch_scc0 TailLoopBeginL_6                    // restart LoopL
TailLoopEndL_7:

SkipTailLoopL_8:

Summation_End_17:
/* endSummation: add vgpr [0...100) to pool */
.set ScalarGlobalReadOffsetA, UNDEF
.set ScalarGlobalReadOffsetB, UNDEF

/* Mapping of Acc register -> C Vgpr register */


	;; [unrolled: 1-line block ×3, first 2 shown]
/* not-LocalSplitU: global write indices */

/* computeStoreVgprs */
v_lshrrev_b32 v4, 6, v[vgprSerial]                 // v4 = v[vgprSerial] / 64
v_lshrrev_b32 v1, 1, v4                            // v1 = v4 / 2
v_mul_lo_u32 v1, 0x20, v1                          // wave coordination offset 1
v_and_b32 v5, 31, v[vgprSerial]                    // v5 = v[vgprSerial] % 32
_v_add_lshl_u32 v1, v5, v1, 1                      // coordination 1 = vwb *(wave_id1 + tid1)
v_mul_lo_u32 v2, v1, s[sgprStrideC1J]              //  offset 1
v_mul_lo_u32 v3, v1, s[sgprStrideD1J]              //  offset 1
v_and_b32 v0, 63, v[vgprSerial]                    // v0 = v[vgprSerial] % 64
v_lshrrev_b32 v0, 5, v0                            // v0 = v0 / 32
v_lshlrev_b32 v0, 0x2, v0                          // thread0 * continuous_output
v_and_b32 v5, 1, v4                                // v5 = v4 % 2
v_mul_lo_u32 v5, 0x20, v5                          // wave coordination offset 0
_v_add_lshl_u32 v0, v5, v0, 1                      // coordination 0 = vwa *(wave_id0 + tid0)
s_mul_i32 s10, 256, s[sgprWorkGroup0]              // wgp0 * MT0
_v_add_u32 v0, s10, v0                             // coord 0 = (tid0/MI_m)*4 + waveG0*MIB_m + MT0*SG0
s_mul_i32 s10, 256, s[sgprWorkGroup1]              // wgp1 * MT1
_v_add_u32 v1, s10, v1                             // coord 1 = (tid0%MI_m) + waveG1*MIB_n + MT1*SG1


/* not-LocalSplitU: global write */

s_and_b32 s36, 255, s[sgprSizeI]                   // s36 = s[sgprSizeI] % 256
s_add_u32 s37, -0x1, s[sgprNumWorkGroups0]         // 
s_cmp_ge_u32 s[sgprWorkGroup0], s37                // wg0 >= nwg0-1 ?
s_cselect_b32 s36, s36, 0                          // set rMT0
s_cmpk_gt_u32 s36, 0x0                             // rMT0 > 0
s_cbranch_scc1 GW_B0_E1_23                         // jump if edges required
s_and_b32 s36, 255, s[sgprSizeJ]                   // s36 = s[sgprSizeJ] % 256
s_add_u32 s37, -0x1, s[sgprNumWorkGroups1]         // 
s_cmp_ge_u32 s[sgprWorkGroup1], s37                // wg1 >= nwg1-1
s_cselect_b32 s36, s36, 0                          // set rMT1
s_cmpk_gt_u32 s36, 0x0                             // rMT1 > 0
s_cbranch_scc1 GW_B0_E1_23                         // jump if edges required
GW_B0_E0_20:

/* edge=0, allocate 2 sgpr. perBatchTmpS=2 perBatchMaskS=0 perElementMaskS=0 elementsPerBatch=60 */
/* optSingleColVgpr=1 optSharedColVgpr=0 optSGPRUsage=BufferLoad_Mask optSrdIncForRow=1 */

/******************************************/
/* Global Write Alpha Batch #0 (d1,d0,vc1,vc0) = */
/*    (0,0,0,0:vw4); (0,0,0,4:vw4); (0,1,0,0:vw4); (0,1,0,4:vw4); (0,2,0,0:vw4); (0,2,0,4:vw4); (0,3,0,0:vw4); (0,3,0,4:vw4); (0,4,0,0:vw4); (0,4,0,4:vw4); (0,5,0,0:vw4); (0,5,0,4:vw4); (0,6,0,0:vw4); (0,6,0,4:vw4); (0,7,0,0:vw4); (0,7,0,4:vw4); (0,0,1,0:vw4); (0,0,1,4:vw4); (0,1,1,0:vw4); (0,1,1,4:vw4); (0,2,1,0:vw4); (0,2,1,4:vw4); (0,3,1,0:vw4); (0,3,1,4:vw4); (0,4,1,0:vw4); (0,4,1,4:vw4); (0,5,1,0:vw4); (0,5,1,4:vw4); (0,6,1,0:vw4); (0,6,1,4:vw4); (0,7,1,0:vw4); (0,7,1,4:vw4); (1,0,0,0:vw4); (1,0,0,4:vw4); (1,1,0,0:vw4); (1,1,0,4:vw4); (1,2,0,0:vw4); (1,2,0,4:vw4); (1,3,0,0:vw4); (1,3,0,4:vw4); (1,4,0,0:vw4); (1,4,0,4:vw4); (1,5,0,0:vw4); (1,5,0,4:vw4); (1,6,0,0:vw4); (1,6,0,4:vw4); (1,7,0,0:vw4); (1,7,0,4:vw4); (1,0,1,0:vw4); (1,0,1,4:vw4); (1,1,1,0:vw4); (1,1,1,4:vw4); (1,2,1,0:vw4); (1,2,1,4:vw4); (1,3,1,0:vw4); (1,3,1,4:vw4); (1,4,1,0:vw4); (1,4,1,4:vw4); (1,5,1,0:vw4); (1,5,1,4:vw4) */
/******************************************/

/* calc coords, apply mask, and issue loads (if necessary) */
/* (d1,vc1,d0,vc0)=(0,0,0,0) */
/* (d1,vc1,d0,vc0)=(0,0,0,4) */
	;; [unrolled: 1-line block ×60, first 2 shown]
_v_add_lshl_u32 v6, v3, v0, 0x2                    // optSingleColVgpr scaleToBpe: sharedAddrVgpr <- cinRowPtr + coord0, scaled by BPE. BSHERE:coord0=0, coord0Vgpr=0
v_accvgpr_read_b32 v[vgprValuC+8], acc0 // copy acc to vreg[0]
v_accvgpr_read_b32 v[vgprValuC+9], acc16 // copy acc to vreg[1]
v_accvgpr_read_b32 v[vgprValuC+10], acc1 // copy acc to vreg[2]
v_accvgpr_read_b32 v[vgprValuC+11], acc17 // copy acc to vreg[3]
v_accvgpr_read_b32 v[vgprValuC+12], acc2 // copy acc to vreg[4]
v_accvgpr_read_b32 v[vgprValuC+13], acc18 // copy acc to vreg[5]
v_accvgpr_read_b32 v[vgprValuC+14], acc3 // copy acc to vreg[6]
v_accvgpr_read_b32 v[vgprValuC+15], acc19 // copy acc to vreg[7]
v_accvgpr_read_b32 v[vgprValuC+16], acc4 // copy acc to vreg[8]
v_accvgpr_read_b32 v[vgprValuC+17], acc20 // copy acc to vreg[9]
v_accvgpr_read_b32 v[vgprValuC+18], acc5 // copy acc to vreg[10]
v_accvgpr_read_b32 v[vgprValuC+19], acc21 // copy acc to vreg[11]
v_accvgpr_read_b32 v[vgprValuC+20], acc6 // copy acc to vreg[12]
v_accvgpr_read_b32 v[vgprValuC+21], acc22 // copy acc to vreg[13]
v_accvgpr_read_b32 v[vgprValuC+22], acc7 // copy acc to vreg[14]
v_accvgpr_read_b32 v[vgprValuC+23], acc23 // copy acc to vreg[15]
v_accvgpr_read_b32 v[vgprValuC+24], acc8 // copy acc to vreg[16]
v_accvgpr_read_b32 v[vgprValuC+25], acc24 // copy acc to vreg[17]
v_accvgpr_read_b32 v[vgprValuC+26], acc9 // copy acc to vreg[18]
v_accvgpr_read_b32 v[vgprValuC+27], acc25 // copy acc to vreg[19]
v_accvgpr_read_b32 v[vgprValuC+28], acc10 // copy acc to vreg[20]
v_accvgpr_read_b32 v[vgprValuC+29], acc26 // copy acc to vreg[21]
v_accvgpr_read_b32 v[vgprValuC+30], acc11 // copy acc to vreg[22]
v_accvgpr_read_b32 v[vgprValuC+31], acc27 // copy acc to vreg[23]
v_accvgpr_read_b32 v[vgprValuC+32], acc12 // copy acc to vreg[24]
v_accvgpr_read_b32 v[vgprValuC+33], acc28 // copy acc to vreg[25]
v_accvgpr_read_b32 v[vgprValuC+34], acc13 // copy acc to vreg[26]
v_accvgpr_read_b32 v[vgprValuC+35], acc29 // copy acc to vreg[27]
v_accvgpr_read_b32 v[vgprValuC+36], acc14 // copy acc to vreg[28]
v_accvgpr_read_b32 v[vgprValuC+37], acc30 // copy acc to vreg[29]
v_accvgpr_read_b32 v[vgprValuC+38], acc15 // copy acc to vreg[30]
v_accvgpr_read_b32 v[vgprValuC+39], acc31 // copy acc to vreg[31]
v_accvgpr_read_b32 v[vgprValuC+40], acc32 // copy acc to vreg[32]
v_accvgpr_read_b32 v[vgprValuC+41], acc48 // copy acc to vreg[33]
v_accvgpr_read_b32 v[vgprValuC+42], acc33 // copy acc to vreg[34]
v_accvgpr_read_b32 v[vgprValuC+43], acc49 // copy acc to vreg[35]
v_accvgpr_read_b32 v[vgprValuC+44], acc34 // copy acc to vreg[36]
v_accvgpr_read_b32 v[vgprValuC+45], acc50 // copy acc to vreg[37]
v_accvgpr_read_b32 v[vgprValuC+46], acc35 // copy acc to vreg[38]
v_accvgpr_read_b32 v[vgprValuC+47], acc51 // copy acc to vreg[39]
v_accvgpr_read_b32 v[vgprValuC+48], acc36 // copy acc to vreg[40]
v_accvgpr_read_b32 v[vgprValuC+49], acc52 // copy acc to vreg[41]
v_accvgpr_read_b32 v[vgprValuC+50], acc37 // copy acc to vreg[42]
v_accvgpr_read_b32 v[vgprValuC+51], acc53 // copy acc to vreg[43]
v_accvgpr_read_b32 v[vgprValuC+52], acc38 // copy acc to vreg[44]
v_accvgpr_read_b32 v[vgprValuC+53], acc54 // copy acc to vreg[45]
v_accvgpr_read_b32 v[vgprValuC+54], acc39 // copy acc to vreg[46]
v_accvgpr_read_b32 v[vgprValuC+55], acc55 // copy acc to vreg[47]
v_accvgpr_read_b32 v[vgprValuC+56], acc40 // copy acc to vreg[48]
v_accvgpr_read_b32 v[vgprValuC+57], acc56 // copy acc to vreg[49]
v_accvgpr_read_b32 v[vgprValuC+58], acc41 // copy acc to vreg[50]
v_accvgpr_read_b32 v[vgprValuC+59], acc57 // copy acc to vreg[51]
v_accvgpr_read_b32 v[vgprValuC+60], acc42 // copy acc to vreg[52]
v_accvgpr_read_b32 v[vgprValuC+61], acc58 // copy acc to vreg[53]
v_accvgpr_read_b32 v[vgprValuC+62], acc43 // copy acc to vreg[54]
v_accvgpr_read_b32 v[vgprValuC+63], acc59 // copy acc to vreg[55]
v_accvgpr_read_b32 v[vgprValuC+64], acc44 // copy acc to vreg[56]
v_accvgpr_read_b32 v[vgprValuC+65], acc60 // copy acc to vreg[57]
v_accvgpr_read_b32 v[vgprValuC+66], acc45 // copy acc to vreg[58]
v_accvgpr_read_b32 v[vgprValuC+67], acc61 // copy acc to vreg[59]
v_accvgpr_read_b32 v[vgprValuC+68], acc46 // copy acc to vreg[60]
v_accvgpr_read_b32 v[vgprValuC+69], acc62 // copy acc to vreg[61]
v_accvgpr_read_b32 v[vgprValuC+70], acc47 // copy acc to vreg[62]
v_accvgpr_read_b32 v[vgprValuC+71], acc63 // copy acc to vreg[63]
v_accvgpr_read_b32 v[vgprValuC+72], acc64 // copy acc to vreg[64]
v_accvgpr_read_b32 v[vgprValuC+73], acc80 // copy acc to vreg[65]
v_accvgpr_read_b32 v[vgprValuC+74], acc65 // copy acc to vreg[66]
v_accvgpr_read_b32 v[vgprValuC+75], acc81 // copy acc to vreg[67]
v_accvgpr_read_b32 v[vgprValuC+76], acc66 // copy acc to vreg[68]
v_accvgpr_read_b32 v[vgprValuC+77], acc82 // copy acc to vreg[69]
v_accvgpr_read_b32 v[vgprValuC+78], acc67 // copy acc to vreg[70]
v_accvgpr_read_b32 v[vgprValuC+79], acc83 // copy acc to vreg[71]
v_accvgpr_read_b32 v[vgprValuC+80], acc68 // copy acc to vreg[72]
v_accvgpr_read_b32 v[vgprValuC+81], acc84 // copy acc to vreg[73]
v_accvgpr_read_b32 v[vgprValuC+82], acc69 // copy acc to vreg[74]
v_accvgpr_read_b32 v[vgprValuC+83], acc85 // copy acc to vreg[75]
v_accvgpr_read_b32 v[vgprValuC+84], acc70 // copy acc to vreg[76]
v_accvgpr_read_b32 v[vgprValuC+85], acc86 // copy acc to vreg[77]
v_accvgpr_read_b32 v[vgprValuC+86], acc71 // copy acc to vreg[78]
v_accvgpr_read_b32 v[vgprValuC+87], acc87 // copy acc to vreg[79]
v_accvgpr_read_b32 v[vgprValuC+88], acc72 // copy acc to vreg[80]
v_accvgpr_read_b32 v[vgprValuC+89], acc88 // copy acc to vreg[81]
v_accvgpr_read_b32 v[vgprValuC+90], acc73 // copy acc to vreg[82]
v_accvgpr_read_b32 v[vgprValuC+91], acc89 // copy acc to vreg[83]
v_accvgpr_read_b32 v[vgprValuC+92], acc74 // copy acc to vreg[84]
v_accvgpr_read_b32 v[vgprValuC+93], acc90 // copy acc to vreg[85]
v_accvgpr_read_b32 v[vgprValuC+94], acc75 // copy acc to vreg[86]
v_accvgpr_read_b32 v[vgprValuC+95], acc91 // copy acc to vreg[87]
v_accvgpr_read_b32 v[vgprValuC+96], acc76 // copy acc to vreg[88]
v_accvgpr_read_b32 v[vgprValuC+97], acc92 // copy acc to vreg[89]
v_accvgpr_read_b32 v[vgprValuC+98], acc77 // copy acc to vreg[90]
v_accvgpr_read_b32 v[vgprValuC+99], acc93 // copy acc to vreg[91]
v_accvgpr_read_b32 v[vgprValuC+104], acc78 // copy acc to vreg[92]
v_accvgpr_read_b32 v[vgprValuC+105], acc94 // copy acc to vreg[93]
v_accvgpr_read_b32 v[vgprValuC+106], acc79 // copy acc to vreg[94]
v_accvgpr_read_b32 v[vgprValuC+107], acc95 // copy acc to vreg[95]
v_accvgpr_read_b32 v[vgprValuC+108], acc96 // copy acc to vreg[96]
v_accvgpr_read_b32 v[vgprValuC+109], acc112 // copy acc to vreg[97]
v_accvgpr_read_b32 v[vgprValuC+110], acc97 // copy acc to vreg[98]
v_accvgpr_read_b32 v[vgprValuC+111], acc113 // copy acc to vreg[99]
v_accvgpr_read_b32 v[vgprValuC+112], acc98 // copy acc to vreg[100]
v_accvgpr_read_b32 v[vgprValuC+113], acc114 // copy acc to vreg[101]
v_accvgpr_read_b32 v[vgprValuC+114], acc99 // copy acc to vreg[102]
v_accvgpr_read_b32 v[vgprValuC+115], acc115 // copy acc to vreg[103]
v_accvgpr_read_b32 v[vgprValuC+116], acc100 // copy acc to vreg[104]
v_accvgpr_read_b32 v[vgprValuC+117], acc116 // copy acc to vreg[105]
v_accvgpr_read_b32 v[vgprValuC+118], acc101 // copy acc to vreg[106]
v_accvgpr_read_b32 v[vgprValuC+119], acc117 // copy acc to vreg[107]
v_accvgpr_read_b32 v[vgprValuC+120], acc102 // copy acc to vreg[108]
v_accvgpr_read_b32 v[vgprValuC+121], acc118 // copy acc to vreg[109]
v_accvgpr_read_b32 v[vgprValuC+122], acc103 // copy acc to vreg[110]
v_accvgpr_read_b32 v[vgprValuC+123], acc119 // copy acc to vreg[111]
v_accvgpr_read_b32 v[vgprValuC+124], acc104 // copy acc to vreg[112]
v_accvgpr_read_b32 v[vgprValuC+125], acc120 // copy acc to vreg[113]
v_accvgpr_read_b32 v[vgprValuC+126], acc105 // copy acc to vreg[114]
v_accvgpr_read_b32 v[vgprValuC+127], acc121 // copy acc to vreg[115]
v_accvgpr_read_b32 v[vgprValuC+128], acc106 // copy acc to vreg[116]
v_accvgpr_read_b32 v[vgprValuC+129], acc122 // copy acc to vreg[117]
v_accvgpr_read_b32 v[vgprValuC+130], acc107 // copy acc to vreg[118]
v_accvgpr_read_b32 v[vgprValuC+131], acc123 // copy acc to vreg[119]
v_accvgpr_read_b32 v[vgprValuC+132], acc108 // copy acc to vreg[120]
v_accvgpr_read_b32 v[vgprValuC+133], acc124 // copy acc to vreg[121]
v_accvgpr_read_b32 v[vgprValuC+134], acc109 // copy acc to vreg[122]
v_accvgpr_read_b32 v[vgprValuC+135], acc125 // copy acc to vreg[123]
v_accvgpr_read_b32 v[vgprValuC+136], acc110 // copy acc to vreg[124]
v_accvgpr_read_b32 v[vgprValuC+137], acc126 // copy acc to vreg[125]
v_accvgpr_read_b32 v[vgprValuC+138], acc111 // copy acc to vreg[126]
v_accvgpr_read_b32 v[vgprValuC+139], acc127 // copy acc to vreg[127]
v_accvgpr_read_b32 v[vgprValuC+140], acc128 // copy acc to vreg[128]
v_accvgpr_read_b32 v[vgprValuC+141], acc144 // copy acc to vreg[129]
v_accvgpr_read_b32 v[vgprValuC+142], acc129 // copy acc to vreg[130]
v_accvgpr_read_b32 v[vgprValuC+143], acc145 // copy acc to vreg[131]
v_accvgpr_read_b32 v[vgprValuC+144], acc130 // copy acc to vreg[132]
v_accvgpr_read_b32 v[vgprValuC+145], acc146 // copy acc to vreg[133]
v_accvgpr_read_b32 v[vgprValuC+146], acc131 // copy acc to vreg[134]
v_accvgpr_read_b32 v[vgprValuC+147], acc147 // copy acc to vreg[135]
v_accvgpr_read_b32 v[vgprValuC+148], acc132 // copy acc to vreg[136]
v_accvgpr_read_b32 v[vgprValuC+149], acc148 // copy acc to vreg[137]
v_accvgpr_read_b32 v[vgprValuC+150], acc133 // copy acc to vreg[138]
v_accvgpr_read_b32 v[vgprValuC+151], acc149 // copy acc to vreg[139]
v_accvgpr_read_b32 v[vgprValuC+152], acc134 // copy acc to vreg[140]
v_accvgpr_read_b32 v[vgprValuC+153], acc150 // copy acc to vreg[141]
v_accvgpr_read_b32 v[vgprValuC+154], acc135 // copy acc to vreg[142]
v_accvgpr_read_b32 v[vgprValuC+155], acc151 // copy acc to vreg[143]
v_accvgpr_read_b32 v[vgprValuC+156], acc136 // copy acc to vreg[144]
v_accvgpr_read_b32 v[vgprValuC+157], acc152 // copy acc to vreg[145]
v_accvgpr_read_b32 v[vgprValuC+158], acc137 // copy acc to vreg[146]
v_accvgpr_read_b32 v[vgprValuC+159], acc153 // copy acc to vreg[147]
v_accvgpr_read_b32 v[vgprValuC+160], acc138 // copy acc to vreg[148]
v_accvgpr_read_b32 v[vgprValuC+161], acc154 // copy acc to vreg[149]
v_accvgpr_read_b32 v[vgprValuC+162], acc139 // copy acc to vreg[150]
v_accvgpr_read_b32 v[vgprValuC+163], acc155 // copy acc to vreg[151]
v_accvgpr_read_b32 v[vgprValuC+164], acc140 // copy acc to vreg[152]
v_accvgpr_read_b32 v[vgprValuC+165], acc156 // copy acc to vreg[153]
v_accvgpr_read_b32 v[vgprValuC+166], acc141 // copy acc to vreg[154]
v_accvgpr_read_b32 v[vgprValuC+167], acc157 // copy acc to vreg[155]
v_accvgpr_read_b32 v[vgprValuC+168], acc142 // copy acc to vreg[156]
v_accvgpr_read_b32 v[vgprValuC+169], acc158 // copy acc to vreg[157]
v_accvgpr_read_b32 v[vgprValuC+170], acc143 // copy acc to vreg[158]
v_accvgpr_read_b32 v[vgprValuC+171], acc159 // copy acc to vreg[159]
v_accvgpr_read_b32 v[vgprValuC+172], acc160 // copy acc to vreg[160]
v_accvgpr_read_b32 v[vgprValuC+173], acc176 // copy acc to vreg[161]
v_accvgpr_read_b32 v[vgprValuC+174], acc161 // copy acc to vreg[162]
v_accvgpr_read_b32 v[vgprValuC+175], acc177 // copy acc to vreg[163]
v_accvgpr_read_b32 v[vgprValuC+176], acc162 // copy acc to vreg[164]
v_accvgpr_read_b32 v[vgprValuC+177], acc178 // copy acc to vreg[165]
v_accvgpr_read_b32 v[vgprValuC+178], acc163 // copy acc to vreg[166]
v_accvgpr_read_b32 v[vgprValuC+179], acc179 // copy acc to vreg[167]
v_accvgpr_read_b32 v[vgprValuC+180], acc164 // copy acc to vreg[168]
v_accvgpr_read_b32 v[vgprValuC+181], acc180 // copy acc to vreg[169]
v_accvgpr_read_b32 v[vgprValuC+182], acc165 // copy acc to vreg[170]
v_accvgpr_read_b32 v[vgprValuC+183], acc181 // copy acc to vreg[171]
v_accvgpr_read_b32 v[vgprValuC+184], acc166 // copy acc to vreg[172]
v_accvgpr_read_b32 v[vgprValuC+185], acc182 // copy acc to vreg[173]
v_accvgpr_read_b32 v[vgprValuC+186], acc167 // copy acc to vreg[174]
v_accvgpr_read_b32 v[vgprValuC+187], acc183 // copy acc to vreg[175]
v_accvgpr_read_b32 v[vgprValuC+188], acc168 // copy acc to vreg[176]
v_accvgpr_read_b32 v[vgprValuC+189], acc184 // copy acc to vreg[177]
v_accvgpr_read_b32 v[vgprValuC+190], acc169 // copy acc to vreg[178]
v_accvgpr_read_b32 v[vgprValuC+191], acc185 // copy acc to vreg[179]
v_accvgpr_read_b32 v[vgprValuC+192], acc170 // copy acc to vreg[180]
v_accvgpr_read_b32 v[vgprValuC+193], acc186 // copy acc to vreg[181]
v_accvgpr_read_b32 v[vgprValuC+194], acc171 // copy acc to vreg[182]
v_accvgpr_read_b32 v[vgprValuC+195], acc187 // copy acc to vreg[183]
v_accvgpr_read_b32 v[vgprValuC+196], acc172 // copy acc to vreg[184]
v_accvgpr_read_b32 v[vgprValuC+197], acc188 // copy acc to vreg[185]
v_accvgpr_read_b32 v[vgprValuC+198], acc173 // copy acc to vreg[186]
v_accvgpr_read_b32 v[vgprValuC+199], acc189 // copy acc to vreg[187]
v_accvgpr_read_b32 v[vgprValuC+200], acc174 // copy acc to vreg[188]
v_accvgpr_read_b32 v[vgprValuC+201], acc190 // copy acc to vreg[189]
v_accvgpr_read_b32 v[vgprValuC+202], acc175 // copy acc to vreg[190]
v_accvgpr_read_b32 v[vgprValuC+203], acc191 // copy acc to vreg[191]
v_accvgpr_read_b32 v[vgprValuC+204], acc192 // copy acc to vreg[192]
v_accvgpr_read_b32 v[vgprValuC+205], acc208 // copy acc to vreg[193]
v_accvgpr_read_b32 v[vgprValuC+206], acc193 // copy acc to vreg[194]
v_accvgpr_read_b32 v[vgprValuC+207], acc209 // copy acc to vreg[195]
v_accvgpr_read_b32 v[vgprValuC+208], acc194 // copy acc to vreg[196]
v_accvgpr_read_b32 v[vgprValuC+209], acc210 // copy acc to vreg[197]
v_accvgpr_read_b32 v[vgprValuC+210], acc195 // copy acc to vreg[198]
v_accvgpr_read_b32 v[vgprValuC+211], acc211 // copy acc to vreg[199]
v_accvgpr_read_b32 v[vgprValuC+212], acc196 // copy acc to vreg[200]
v_accvgpr_read_b32 v[vgprValuC+213], acc212 // copy acc to vreg[201]
v_accvgpr_read_b32 v[vgprValuC+214], acc197 // copy acc to vreg[202]
v_accvgpr_read_b32 v[vgprValuC+215], acc213 // copy acc to vreg[203]
v_accvgpr_read_b32 v[vgprValuC+216], acc198 // copy acc to vreg[204]
v_accvgpr_read_b32 v[vgprValuC+217], acc214 // copy acc to vreg[205]
v_accvgpr_read_b32 v[vgprValuC+218], acc199 // copy acc to vreg[206]
v_accvgpr_read_b32 v[vgprValuC+219], acc215 // copy acc to vreg[207]
v_accvgpr_read_b32 v[vgprValuC+220], acc200 // copy acc to vreg[208]
v_accvgpr_read_b32 v[vgprValuC+221], acc216 // copy acc to vreg[209]
v_accvgpr_read_b32 v[vgprValuC+222], acc201 // copy acc to vreg[210]
v_accvgpr_read_b32 v[vgprValuC+223], acc217 // copy acc to vreg[211]
v_accvgpr_read_b32 v[vgprValuC+224], acc202 // copy acc to vreg[212]
v_accvgpr_read_b32 v[vgprValuC+225], acc218 // copy acc to vreg[213]
v_accvgpr_read_b32 v[vgprValuC+226], acc203 // copy acc to vreg[214]
v_accvgpr_read_b32 v[vgprValuC+227], acc219 // copy acc to vreg[215]
v_accvgpr_read_b32 v[vgprValuC+228], acc204 // copy acc to vreg[216]
v_accvgpr_read_b32 v[vgprValuC+229], acc220 // copy acc to vreg[217]
v_accvgpr_read_b32 v[vgprValuC+230], acc205 // copy acc to vreg[218]
v_accvgpr_read_b32 v[vgprValuC+231], acc221 // copy acc to vreg[219]
v_accvgpr_read_b32 v[vgprValuC+232], acc206 // copy acc to vreg[220]
v_accvgpr_read_b32 v[vgprValuC+233], acc222 // copy acc to vreg[221]
v_accvgpr_read_b32 v[vgprValuC+234], acc207 // copy acc to vreg[222]
v_accvgpr_read_b32 v[vgprValuC+235], acc223 // copy acc to vreg[223]
v_accvgpr_read_b32 v[vgprValuC+236], acc224 // copy acc to vreg[224]
v_accvgpr_read_b32 v[vgprValuC+237], acc240 // copy acc to vreg[225]
v_accvgpr_read_b32 v[vgprValuC+238], acc225 // copy acc to vreg[226]
v_accvgpr_read_b32 v[vgprValuC+239], acc241 // copy acc to vreg[227]
v_accvgpr_read_b32 v[vgprValuC+240], acc226 // copy acc to vreg[228]
v_accvgpr_read_b32 v[vgprValuC+241], acc242 // copy acc to vreg[229]
v_accvgpr_read_b32 v[vgprValuC+242], acc227 // copy acc to vreg[230]
v_accvgpr_read_b32 v[vgprValuC+243], acc243 // copy acc to vreg[231]
v_accvgpr_read_b32 v[vgprValuC+244], acc228 // copy acc to vreg[232]
v_accvgpr_read_b32 v[vgprValuC+245], acc244 // copy acc to vreg[233]
v_accvgpr_read_b32 v[vgprValuC+246], acc229 // copy acc to vreg[234]
v_accvgpr_read_b32 v[vgprValuC+247], acc245 // copy acc to vreg[235]
v_accvgpr_read_b32 v[vgprValuC+248], acc230 // copy acc to vreg[236]
v_accvgpr_read_b32 v[vgprValuC+249], acc246 // copy acc to vreg[237]
v_accvgpr_read_b32 v[vgprValuC+250], acc231 // copy acc to vreg[238]
v_accvgpr_read_b32 v[vgprValuC+251], acc247 // copy acc to vreg[239]
s_nop 1                                            // 2 wait states required before reading vgpr

/* rC *= alpha batchElements=[(0, 0, 0, 0), (0, 0, 0, 4), (0, 1, 0, 0), (0, 1, 0, 4), (0, 2, 0, 0), (0, 2, 0, 4), (0, 3, 0, 0), (0, 3, 0, 4), (0, 4, 0, 0), (0, 4, 0, 4), (0, 5, 0, 0), (0, 5, 0, 4), (0, 6, 0, 0), (0, 6, 0, 4), (0, 7, 0, 0), (0, 7, 0, 4), (0, 0, 1, 0), (0, 0, 1, 4), (0, 1, 1, 0), (0, 1, 1, 4), (0, 2, 1, 0), (0, 2, 1, 4), (0, 3, 1, 0), (0, 3, 1, 4), (0, 4, 1, 0), (0, 4, 1, 4), (0, 5, 1, 0), (0, 5, 1, 4), (0, 6, 1, 0), (0, 6, 1, 4), (0, 7, 1, 0), (0, 7, 1, 4), (1, 0, 0, 0), (1, 0, 0, 4), (1, 1, 0, 0), (1, 1, 0, 4), (1, 2, 0, 0), (1, 2, 0, 4), (1, 3, 0, 0), (1, 3, 0, 4), (1, 4, 0, 0), (1, 4, 0, 4), (1, 5, 0, 0), (1, 5, 0, 4), (1, 6, 0, 0), (1, 6, 0, 4), (1, 7, 0, 0), (1, 7, 0, 4), (1, 0, 1, 0), (1, 0, 1, 4), (1, 1, 1, 0), (1, 1, 1, 4), (1, 2, 1, 0), (1, 2, 1, 4), (1, 3, 1, 0), (1, 3, 1, 4), (1, 4, 1, 0), (1, 4, 1, 4), (1, 5, 1, 0), (1, 5, 1, 4)] */

/* apply mask, calc new C and issue writes */
_buffer_store_b128 v[8:11], v6, s[sgprSrdD:sgprSrdD+3], 0, offen, offset:0 // store D
_buffer_store_b128 v[12:15], v6, s[sgprSrdD:sgprSrdD+3], 0, offen, offset:16 // store D
	;; [unrolled: 1-line block ×16, first 2 shown]
s_lshl_b32  s10, s[sgprStrideD1J], 2               // incToNextRow: Scale by BPE
s_add_u32  s[sgprSrdD+0], s[sgprSrdD+0], s10       // incToNextRow: gra SRD += inc(lower)
s_addc_u32  s[sgprSrdD+1], s[sgprSrdD+1], 0        // incToNextRow: gra SRD += inc(upper)
_buffer_store_b128 v[72:75], v6, s[sgprSrdD:sgprSrdD+3], 0, offen, offset:0 // store D
_buffer_store_b128 v[76:79], v6, s[sgprSrdD:sgprSrdD+3], 0, offen, offset:16 // store D
	;; [unrolled: 1-line block ×16, first 2 shown]
s_mul_i32 s10, s[sgprStrideD1J], 508               // scale StrideD *= numRows(127) * bpe
s_add_u32  s[sgprSrdD+0], s[sgprSrdD+0], s10       // incToNextRow: gra SRD += inc(lower)
s_addc_u32  s[sgprSrdD+1], s[sgprSrdD+1], 0        // incToNextRow: gra SRD += inc(upper)
_buffer_store_b128 v[140:143], v6, s[sgprSrdD:sgprSrdD+3], 0, offen, offset:0 // store D
_buffer_store_b128 v[144:147], v6, s[sgprSrdD:sgprSrdD+3], 0, offen, offset:16 // store D
	;; [unrolled: 1-line block ×16, first 2 shown]
s_lshl_b32  s10, s[sgprStrideD1J], 2               // incToNextRow: Scale by BPE
s_add_u32  s[sgprSrdD+0], s[sgprSrdD+0], s10       // incToNextRow: gra SRD += inc(lower)
s_addc_u32  s[sgprSrdD+1], s[sgprSrdD+1], 0        // incToNextRow: gra SRD += inc(upper)
_buffer_store_b128 v[204:207], v6, s[sgprSrdD:sgprSrdD+3], 0, offen, offset:0 // store D
_buffer_store_b128 v[208:211], v6, s[sgprSrdD:sgprSrdD+3], 0, offen, offset:16 // store D
	;; [unrolled: 1-line block ×12, first 2 shown]
s_nop 0                                            // 1 wait state required when next inst writes vgprs held by previous dwordx4 store inst
/* optSingleColVgpr=1 optSharedColVgpr=0 optSGPRUsage=BufferLoad_Mask optSrdIncForRow=1 */

/******************************************/
/* Global Write Alpha Batch #1 (d1,d0,vc1,vc0) = */
/*    (1,6,1,0:vw4); (1,6,1,4:vw4); (1,7,1,0:vw4); (1,7,1,4:vw4) */
/******************************************/

/* calc coords, apply mask, and issue loads (if necessary) */
/* (d1,vc1,d0,vc0)=(1,1,6,0) */
/* (d1,vc1,d0,vc0)=(1,1,6,4) */
	;; [unrolled: 1-line block ×4, first 2 shown]
v_accvgpr_read_b32 v[vgprValuC+8], acc232 // copy acc to vreg[240]
v_accvgpr_read_b32 v[vgprValuC+9], acc248 // copy acc to vreg[241]
v_accvgpr_read_b32 v[vgprValuC+10], acc233 // copy acc to vreg[242]
v_accvgpr_read_b32 v[vgprValuC+11], acc249 // copy acc to vreg[243]
v_accvgpr_read_b32 v[vgprValuC+12], acc234 // copy acc to vreg[244]
v_accvgpr_read_b32 v[vgprValuC+13], acc250 // copy acc to vreg[245]
v_accvgpr_read_b32 v[vgprValuC+14], acc235 // copy acc to vreg[246]
v_accvgpr_read_b32 v[vgprValuC+15], acc251 // copy acc to vreg[247]
v_accvgpr_read_b32 v[vgprValuC+16], acc236 // copy acc to vreg[248]
v_accvgpr_read_b32 v[vgprValuC+17], acc252 // copy acc to vreg[249]
v_accvgpr_read_b32 v[vgprValuC+18], acc237 // copy acc to vreg[250]
v_accvgpr_read_b32 v[vgprValuC+19], acc253 // copy acc to vreg[251]
v_accvgpr_read_b32 v[vgprValuC+20], acc238 // copy acc to vreg[252]
v_accvgpr_read_b32 v[vgprValuC+21], acc254 // copy acc to vreg[253]
v_accvgpr_read_b32 v[vgprValuC+22], acc239 // copy acc to vreg[254]
v_accvgpr_read_b32 v[vgprValuC+23], acc255 // copy acc to vreg[255]
s_nop 1                                            // 2 wait states required before reading vgpr

/* rC *= alpha batchElements=[(1, 6, 1, 0), (1, 6, 1, 4), (1, 7, 1, 0), (1, 7, 1, 4)] */

/* apply mask, calc new C and issue writes */
_buffer_store_b128 v[8:11], v6, s[sgprSrdD:sgprSrdD+3], 0, offen, offset:640 // store D
_buffer_store_b128 v[12:15], v6, s[sgprSrdD:sgprSrdD+3], 0, offen, offset:656 // store D
	;; [unrolled: 1-line block ×4, first 2 shown]
s_nop 0                                            // 1 wait state required when next inst writes vgprs held by previous dwordx4 store inst
s_branch label_GW_End_25                           // jump to end
GW_B0_E1_23:

/* edge=1, allocate 6 sgpr. perBatchTmpS=4 perBatchMaskS=2 perElementMaskS=0 elementsPerBatch=48 */
/* optSingleColVgpr=0 optSharedColVgpr=0 optSGPRUsage=BufferLoad_Edge_Mask optSrdIncForRow=0 */

/******************************************/
/* Global Write Alpha Edge Batch #0 (d1,d0,vc1,vc0) = */
/*    (0,0,0,0:vw4); (0,0,0,4:vw4); (0,1,0,0:vw4); (0,1,0,4:vw4); (0,2,0,0:vw4); (0,2,0,4:vw4); (0,3,0,0:vw4); (0,3,0,4:vw4); (0,4,0,0:vw4); (0,4,0,4:vw4); (0,5,0,0:vw4); (0,5,0,4:vw4); (0,6,0,0:vw4); (0,6,0,4:vw4); (0,7,0,0:vw4); (0,7,0,4:vw4); (0,0,1,0:vw4); (0,0,1,4:vw4); (0,1,1,0:vw4); (0,1,1,4:vw4); (0,2,1,0:vw4); (0,2,1,4:vw4); (0,3,1,0:vw4); (0,3,1,4:vw4); (0,4,1,0:vw4); (0,4,1,4:vw4); (0,5,1,0:vw4); (0,5,1,4:vw4); (0,6,1,0:vw4); (0,6,1,4:vw4); (0,7,1,0:vw4); (0,7,1,4:vw4); (1,0,0,0:vw4); (1,0,0,4:vw4); (1,1,0,0:vw4); (1,1,0,4:vw4); (1,2,0,0:vw4); (1,2,0,4:vw4); (1,3,0,0:vw4); (1,3,0,4:vw4); (1,4,0,0:vw4); (1,4,0,4:vw4); (1,5,0,0:vw4); (1,5,0,4:vw4); (1,6,0,0:vw4); (1,6,0,4:vw4); (1,7,0,0:vw4); (1,7,0,4:vw4) */
/******************************************/

/* calc coords, apply mask, and issue loads (if necessary) */
/* (d1,vc1,d0,vc0)=(0,0,0,0) */
v_cmp_lt_u32 s[56:57], v0, s[sgprSizeI]            // coord0 < size0
v_cmp_lt_u32 s[60:61], v1, s[sgprSizeJ]            // coord1 < size1
s_and_b64 s[60:61], s[56:57], s[60:61]             // in0 && in1
_v_add_lshl_u32 v6, v3, v0, 0x2                    // scaleToBpe: accumulate d0 lower and *= bpe into Cin addr
v_cndmask_b32 v6, -1, v6, s[60:61]                 // LDD clip if OOB. offset
/* (d1,vc1,d0,vc0)=(0,0,0,4) */
_v_add_co_u32 v4, vcc, v0, 4                       // coord0.1: coord0 += d0*sg0*VW + vc0
v_cmp_lt_u32 s[56:57], v4, s[sgprSizeI]            // coord0 < size0
v_cmp_lt_u32 s[60:61], v1, s[sgprSizeJ]            // coord1 < size1
s_and_b64 s[60:61], s[56:57], s[60:61]             // in0 && in1
_v_add_lshl_u32 v7, v3, v4, 0x2                    // scaleToBpe: accumulate d0 lower and *= bpe into Cin addr
v_cndmask_b32 v7, -1, v7, s[60:61]                 // LDD clip if OOB. offset
/* (d1,vc1,d0,vc0)=(0,0,1,0) */
_v_add_co_u32 v4, vcc, v0, 16                      // coord0.1: coord0 += d0*sg0*VW + vc0
v_cmp_lt_u32 s[56:57], v4, s[sgprSizeI]            // coord0 < size0
v_cmp_lt_u32 s[60:61], v1, s[sgprSizeJ]            // coord1 < size1
s_and_b64 s[60:61], s[56:57], s[60:61]             // in0 && in1
_v_add_lshl_u32 v16, v3, v4, 0x2                   // scaleToBpe: accumulate d0 lower and *= bpe into Cin addr
v_cndmask_b32 v16, -1, v16, s[60:61]               // LDD clip if OOB. offset
/* (d1,vc1,d0,vc0)=(0,0,1,4) */
_v_add_co_u32 v4, vcc, v0, 20                      // coord0.1: coord0 += d0*sg0*VW + vc0
v_cmp_lt_u32 s[56:57], v4, s[sgprSizeI]            // coord0 < size0
v_cmp_lt_u32 s[60:61], v1, s[sgprSizeJ]            // coord1 < size1
s_and_b64 s[60:61], s[56:57], s[60:61]             // in0 && in1
_v_add_lshl_u32 v17, v3, v4, 0x2                   // scaleToBpe: accumulate d0 lower and *= bpe into Cin addr
v_cndmask_b32 v17, -1, v17, s[60:61]               // LDD clip if OOB. offset
	;; [unrolled: 7-line block ×6, first 2 shown]
/* (d1,vc1,d0,vc0)=(0,0,4,0) */
s_mov_b32 s56, 128                                 // coordOffset0 d0=4 vc0=0
_v_add_co_u32 v4, vcc, v0, s56                     // coord0.2: coord0 += d0*sg0*VW + vc0
v_cmp_lt_u32 s[56:57], v4, s[sgprSizeI]            // coord0 < size0
v_cmp_lt_u32 s[60:61], v1, s[sgprSizeJ]            // coord1 < size1
s_and_b64 s[60:61], s[56:57], s[60:61]             // in0 && in1
_v_add_lshl_u32 v38, v3, v4, 0x2                   // scaleToBpe: accumulate d0 lower and *= bpe into Cin addr
v_cndmask_b32 v38, -1, v38, s[60:61]               // LDD clip if OOB. offset
/* (d1,vc1,d0,vc0)=(0,0,4,4) */
s_mov_b32 s56, 132                                 // coordOffset0 d0=4 vc0=4
_v_add_co_u32 v4, vcc, v0, s56                     // coord0.2: coord0 += d0*sg0*VW + vc0
v_cmp_lt_u32 s[56:57], v4, s[sgprSizeI]            // coord0 < size0
v_cmp_lt_u32 s[60:61], v1, s[sgprSizeJ]            // coord1 < size1
s_and_b64 s[60:61], s[56:57], s[60:61]             // in0 && in1
_v_add_lshl_u32 v39, v3, v4, 0x2                   // scaleToBpe: accumulate d0 lower and *= bpe into Cin addr
v_cndmask_b32 v39, -1, v39, s[60:61]               // LDD clip if OOB. offset
	;; [unrolled: 8-line block ×8, first 2 shown]
/* (d1,vc1,d0,vc0)=(0,1,0,0) */
_v_add_co_u32 v1, vcc, v1, 1                       // coord1.1: coord1Vgpr += d1*sg1*VW + vc1

/* Fix for UseInitialStridesCD, emitAddressSetupCode */
_v_add_u32 v2, v2, s[sgprStrideC1J]                // ROWINC- Move cinRowPtr to next row
_v_add_u32 v3, v3, s[sgprStrideD1J]                // Move coutRowPtr to next row
v_cmp_lt_u32 s[56:57], v0, s[sgprSizeI]            // coord0 < size0
v_cmp_lt_u32 s[60:61], v1, s[sgprSizeJ]            // coord1 < size1
s_and_b64 s[60:61], s[56:57], s[60:61]             // in0 && in1
_v_add_lshl_u32 v78, v3, v0, 0x2                   // scaleToBpe: accumulate d0 lower and *= bpe into Cin addr
v_cndmask_b32 v78, -1, v78, s[60:61]               // LDD clip if OOB. offset
/* (d1,vc1,d0,vc0)=(0,1,0,4) */
_v_add_co_u32 v4, vcc, v0, 4                       // coord0.1: coord0 += d0*sg0*VW + vc0
v_cmp_lt_u32 s[56:57], v4, s[sgprSizeI]            // coord0 < size0
v_cmp_lt_u32 s[60:61], v1, s[sgprSizeJ]            // coord1 < size1
s_and_b64 s[60:61], s[56:57], s[60:61]             // in0 && in1
_v_add_lshl_u32 v79, v3, v4, 0x2                   // scaleToBpe: accumulate d0 lower and *= bpe into Cin addr
v_cndmask_b32 v79, -1, v79, s[60:61]               // LDD clip if OOB. offset
/* (d1,vc1,d0,vc0)=(0,1,1,0) */
_v_add_co_u32 v4, vcc, v0, 16                      // coord0.1: coord0 += d0*sg0*VW + vc0
v_cmp_lt_u32 s[56:57], v4, s[sgprSizeI]            // coord0 < size0
v_cmp_lt_u32 s[60:61], v1, s[sgprSizeJ]            // coord1 < size1
s_and_b64 s[60:61], s[56:57], s[60:61]             // in0 && in1
_v_add_lshl_u32 v96, v3, v4, 0x2                   // scaleToBpe: accumulate d0 lower and *= bpe into Cin addr
v_cndmask_b32 v96, -1, v96, s[60:61]               // LDD clip if OOB. offset
/* (d1,vc1,d0,vc0)=(0,1,1,4) */
_v_add_co_u32 v4, vcc, v0, 20                      // coord0.1: coord0 += d0*sg0*VW + vc0
v_cmp_lt_u32 s[56:57], v4, s[sgprSizeI]            // coord0 < size0
v_cmp_lt_u32 s[60:61], v1, s[sgprSizeJ]            // coord1 < size1
s_and_b64 s[60:61], s[56:57], s[60:61]             // in0 && in1
_v_add_lshl_u32 v97, v3, v4, 0x2                   // scaleToBpe: accumulate d0 lower and *= bpe into Cin addr
v_cndmask_b32 v97, -1, v97, s[60:61]               // LDD clip if OOB. offset
/* (d1,vc1,d0,vc0)=(0,1,2,0) */
_v_add_co_u32 v4, vcc, v0, 32                      // coord0.1: coord0 += d0*sg0*VW + vc0
v_cmp_lt_u32 s[56:57], v4, s[sgprSizeI]            // coord0 < size0
v_cmp_lt_u32 s[60:61], v1, s[sgprSizeJ]            // coord1 < size1
s_and_b64 s[60:61], s[56:57], s[60:61]             // in0 && in1
_v_add_lshl_u32 v98, v3, v4, 0x2                   // scaleToBpe: accumulate d0 lower and *= bpe into Cin addr
v_cndmask_b32 v98, -1, v98, s[60:61]               // LDD clip if OOB. offset
/* (d1,vc1,d0,vc0)=(0,1,2,4) */
_v_add_co_u32 v4, vcc, v0, 36                      // coord0.1: coord0 += d0*sg0*VW + vc0
v_cmp_lt_u32 s[56:57], v4, s[sgprSizeI]            // coord0 < size0
v_cmp_lt_u32 s[60:61], v1, s[sgprSizeJ]            // coord1 < size1
s_and_b64 s[60:61], s[56:57], s[60:61]             // in0 && in1
_v_add_lshl_u32 v99, v3, v4, 0x2                   // scaleToBpe: accumulate d0 lower and *= bpe into Cin addr
v_cndmask_b32 v99, -1, v99, s[60:61]               // LDD clip if OOB. offset
/* (d1,vc1,d0,vc0)=(0,1,3,0) */
_v_add_co_u32 v4, vcc, v0, 48                      // coord0.1: coord0 += d0*sg0*VW + vc0
v_cmp_lt_u32 s[56:57], v4, s[sgprSizeI]            // coord0 < size0
v_cmp_lt_u32 s[60:61], v1, s[sgprSizeJ]            // coord1 < size1
s_and_b64 s[60:61], s[56:57], s[60:61]             // in0 && in1
_v_add_lshl_u32 v103, v3, v4, 0x2                  // scaleToBpe: accumulate d0 lower and *= bpe into Cin addr
v_cndmask_b32 v103, -1, v103, s[60:61]             // LDD clip if OOB. offset
/* (d1,vc1,d0,vc0)=(0,1,3,4) */
_v_add_co_u32 v4, vcc, v0, 52                      // coord0.1: coord0 += d0*sg0*VW + vc0
v_cmp_lt_u32 s[56:57], v4, s[sgprSizeI]            // coord0 < size0
v_cmp_lt_u32 s[60:61], v1, s[sgprSizeJ]            // coord1 < size1
s_and_b64 s[60:61], s[56:57], s[60:61]             // in0 && in1
_v_add_lshl_u32 v124, v3, v4, 0x2                  // scaleToBpe: accumulate d0 lower and *= bpe into Cin addr
v_cndmask_b32 v124, -1, v124, s[60:61]             // LDD clip if OOB. offset
/* (d1,vc1,d0,vc0)=(0,1,4,0) */
s_mov_b32 s56, 128                                 // coordOffset0 d0=4 vc0=0
_v_add_co_u32 v4, vcc, v0, s56                     // coord0.2: coord0 += d0*sg0*VW + vc0
v_cmp_lt_u32 s[56:57], v4, s[sgprSizeI]            // coord0 < size0
v_cmp_lt_u32 s[60:61], v1, s[sgprSizeJ]            // coord1 < size1
s_and_b64 s[60:61], s[56:57], s[60:61]             // in0 && in1
_v_add_lshl_u32 v125, v3, v4, 0x2                  // scaleToBpe: accumulate d0 lower and *= bpe into Cin addr
v_cndmask_b32 v125, -1, v125, s[60:61]             // LDD clip if OOB. offset
/* (d1,vc1,d0,vc0)=(0,1,4,4) */
s_mov_b32 s56, 132                                 // coordOffset0 d0=4 vc0=4
_v_add_co_u32 v4, vcc, v0, s56                     // coord0.2: coord0 += d0*sg0*VW + vc0
	;; [unrolled: 8-line block ×8, first 2 shown]
v_cmp_lt_u32 s[56:57], v4, s[sgprSizeI]            // coord0 < size0
v_cmp_lt_u32 s[60:61], v1, s[sgprSizeJ]            // coord1 < size1
s_and_b64 s[60:61], s[56:57], s[60:61]             // in0 && in1
_v_add_lshl_u32 v164, v3, v4, 0x2                  // scaleToBpe: accumulate d0 lower and *= bpe into Cin addr
v_cndmask_b32 v164, -1, v164, s[60:61]             // LDD clip if OOB. offset
/* (d1,vc1,d0,vc0)=(1,0,0,0) */
s_mov_b32 s56, 127                                 // rowInc d1=0 vc1=0
_v_add_co_u32 v1, vcc, v1, s56                     // coord1.2: coord1 += d1*sg1*VW + vc1

/* Fix for UseInitialStridesCD, emitAddressSetupCode */
s_mul_i32 s56, s[sgprStrideC1J], 127               // scale stride
_v_add_u32 v2, v2, s56                             // ROWINC- Move cinRowPtr to next row
s_mul_i32 s56, s[sgprStrideD1J], 127               // scale stride
_v_add_u32 v3, v3, s56                             // Move coutRowPtr to next row
v_cmp_lt_u32 s[56:57], v0, s[sgprSizeI]            // coord0 < size0
v_cmp_lt_u32 s[60:61], v1, s[sgprSizeJ]            // coord1 < size1
s_and_b64 s[60:61], s[56:57], s[60:61]             // in0 && in1
_v_add_lshl_u32 v165, v3, v0, 0x2                  // scaleToBpe: accumulate d0 lower and *= bpe into Cin addr
v_cndmask_b32 v165, -1, v165, s[60:61]             // LDD clip if OOB. offset
/* (d1,vc1,d0,vc0)=(1,0,0,4) */
_v_add_co_u32 v4, vcc, v0, 4                       // coord0.1: coord0 += d0*sg0*VW + vc0
v_cmp_lt_u32 s[56:57], v4, s[sgprSizeI]            // coord0 < size0
v_cmp_lt_u32 s[60:61], v1, s[sgprSizeJ]            // coord1 < size1
s_and_b64 s[60:61], s[56:57], s[60:61]             // in0 && in1
_v_add_lshl_u32 v166, v3, v4, 0x2                  // scaleToBpe: accumulate d0 lower and *= bpe into Cin addr
v_cndmask_b32 v166, -1, v166, s[60:61]             // LDD clip if OOB. offset
/* (d1,vc1,d0,vc0)=(1,0,1,0) */
_v_add_co_u32 v4, vcc, v0, 16                      // coord0.1: coord0 += d0*sg0*VW + vc0
v_cmp_lt_u32 s[56:57], v4, s[sgprSizeI]            // coord0 < size0
v_cmp_lt_u32 s[60:61], v1, s[sgprSizeJ]            // coord1 < size1
s_and_b64 s[60:61], s[56:57], s[60:61]             // in0 && in1
_v_add_lshl_u32 v167, v3, v4, 0x2                  // scaleToBpe: accumulate d0 lower and *= bpe into Cin addr
v_cndmask_b32 v167, -1, v167, s[60:61]             // LDD clip if OOB. offset
/* (d1,vc1,d0,vc0)=(1,0,1,4) */
_v_add_co_u32 v4, vcc, v0, 20                      // coord0.1: coord0 += d0*sg0*VW + vc0
	;; [unrolled: 7-line block ×6, first 2 shown]
v_cmp_lt_u32 s[56:57], v4, s[sgprSizeI]            // coord0 < size0
v_cmp_lt_u32 s[60:61], v1, s[sgprSizeJ]            // coord1 < size1
s_and_b64 s[60:61], s[56:57], s[60:61]             // in0 && in1
_v_add_lshl_u32 v204, v3, v4, 0x2                  // scaleToBpe: accumulate d0 lower and *= bpe into Cin addr
v_cndmask_b32 v204, -1, v204, s[60:61]             // LDD clip if OOB. offset
/* (d1,vc1,d0,vc0)=(1,0,4,0) */
s_mov_b32 s56, 128                                 // coordOffset0 d0=4 vc0=0
_v_add_co_u32 v4, vcc, v0, s56                     // coord0.2: coord0 += d0*sg0*VW + vc0
v_cmp_lt_u32 s[56:57], v4, s[sgprSizeI]            // coord0 < size0
v_cmp_lt_u32 s[60:61], v1, s[sgprSizeJ]            // coord1 < size1
s_and_b64 s[60:61], s[56:57], s[60:61]             // in0 && in1
_v_add_lshl_u32 v205, v3, v4, 0x2                  // scaleToBpe: accumulate d0 lower and *= bpe into Cin addr
v_cndmask_b32 v205, -1, v205, s[60:61]             // LDD clip if OOB. offset
/* (d1,vc1,d0,vc0)=(1,0,4,4) */
s_mov_b32 s56, 132                                 // coordOffset0 d0=4 vc0=4
_v_add_co_u32 v4, vcc, v0, s56                     // coord0.2: coord0 += d0*sg0*VW + vc0
	;; [unrolled: 8-line block ×8, first 2 shown]
v_cmp_lt_u32 s[56:57], v4, s[sgprSizeI]            // coord0 < size0
v_cmp_lt_u32 s[60:61], v1, s[sgprSizeJ]            // coord1 < size1
s_and_b64 s[60:61], s[56:57], s[60:61]             // in0 && in1
_v_add_lshl_u32 v244, v3, v4, 0x2                  // scaleToBpe: accumulate d0 lower and *= bpe into Cin addr
v_cndmask_b32 v244, -1, v244, s[60:61]             // LDD clip if OOB. offset
v_accvgpr_read_b32 v[vgprValuC+8], acc0 // copy acc to vreg[0]
v_accvgpr_read_b32 v[vgprValuC+9], acc16 // copy acc to vreg[1]
v_accvgpr_read_b32 v[vgprValuC+10], acc1 // copy acc to vreg[2]
v_accvgpr_read_b32 v[vgprValuC+11], acc17 // copy acc to vreg[3]
v_accvgpr_read_b32 v[vgprValuC+12], acc2 // copy acc to vreg[4]
v_accvgpr_read_b32 v[vgprValuC+13], acc18 // copy acc to vreg[5]
v_accvgpr_read_b32 v[vgprValuC+14], acc3 // copy acc to vreg[6]
v_accvgpr_read_b32 v[vgprValuC+15], acc19 // copy acc to vreg[7]
v_accvgpr_read_b32 v[vgprValuC+20], acc4 // copy acc to vreg[8]
v_accvgpr_read_b32 v[vgprValuC+21], acc20 // copy acc to vreg[9]
v_accvgpr_read_b32 v[vgprValuC+22], acc5 // copy acc to vreg[10]
v_accvgpr_read_b32 v[vgprValuC+23], acc21 // copy acc to vreg[11]
v_accvgpr_read_b32 v[vgprValuC+24], acc6 // copy acc to vreg[12]
v_accvgpr_read_b32 v[vgprValuC+25], acc22 // copy acc to vreg[13]
v_accvgpr_read_b32 v[vgprValuC+26], acc7 // copy acc to vreg[14]
v_accvgpr_read_b32 v[vgprValuC+27], acc23 // copy acc to vreg[15]
v_accvgpr_read_b32 v[vgprValuC+28], acc8 // copy acc to vreg[16]
v_accvgpr_read_b32 v[vgprValuC+29], acc24 // copy acc to vreg[17]
v_accvgpr_read_b32 v[vgprValuC+30], acc9 // copy acc to vreg[18]
v_accvgpr_read_b32 v[vgprValuC+31], acc25 // copy acc to vreg[19]
v_accvgpr_read_b32 v[vgprValuC+32], acc10 // copy acc to vreg[20]
v_accvgpr_read_b32 v[vgprValuC+33], acc26 // copy acc to vreg[21]
v_accvgpr_read_b32 v[vgprValuC+34], acc11 // copy acc to vreg[22]
v_accvgpr_read_b32 v[vgprValuC+35], acc27 // copy acc to vreg[23]
v_accvgpr_read_b32 v[vgprValuC+40], acc12 // copy acc to vreg[24]
v_accvgpr_read_b32 v[vgprValuC+41], acc28 // copy acc to vreg[25]
v_accvgpr_read_b32 v[vgprValuC+42], acc13 // copy acc to vreg[26]
v_accvgpr_read_b32 v[vgprValuC+43], acc29 // copy acc to vreg[27]
v_accvgpr_read_b32 v[vgprValuC+44], acc14 // copy acc to vreg[28]
v_accvgpr_read_b32 v[vgprValuC+45], acc30 // copy acc to vreg[29]
v_accvgpr_read_b32 v[vgprValuC+46], acc15 // copy acc to vreg[30]
v_accvgpr_read_b32 v[vgprValuC+47], acc31 // copy acc to vreg[31]
v_accvgpr_read_b32 v[vgprValuC+48], acc32 // copy acc to vreg[32]
v_accvgpr_read_b32 v[vgprValuC+49], acc48 // copy acc to vreg[33]
v_accvgpr_read_b32 v[vgprValuC+50], acc33 // copy acc to vreg[34]
v_accvgpr_read_b32 v[vgprValuC+51], acc49 // copy acc to vreg[35]
v_accvgpr_read_b32 v[vgprValuC+52], acc34 // copy acc to vreg[36]
v_accvgpr_read_b32 v[vgprValuC+53], acc50 // copy acc to vreg[37]
v_accvgpr_read_b32 v[vgprValuC+54], acc35 // copy acc to vreg[38]
v_accvgpr_read_b32 v[vgprValuC+55], acc51 // copy acc to vreg[39]
v_accvgpr_read_b32 v[vgprValuC+60], acc36 // copy acc to vreg[40]
v_accvgpr_read_b32 v[vgprValuC+61], acc52 // copy acc to vreg[41]
v_accvgpr_read_b32 v[vgprValuC+62], acc37 // copy acc to vreg[42]
v_accvgpr_read_b32 v[vgprValuC+63], acc53 // copy acc to vreg[43]
v_accvgpr_read_b32 v[vgprValuC+64], acc38 // copy acc to vreg[44]
v_accvgpr_read_b32 v[vgprValuC+65], acc54 // copy acc to vreg[45]
v_accvgpr_read_b32 v[vgprValuC+66], acc39 // copy acc to vreg[46]
v_accvgpr_read_b32 v[vgprValuC+67], acc55 // copy acc to vreg[47]
v_accvgpr_read_b32 v[vgprValuC+68], acc40 // copy acc to vreg[48]
v_accvgpr_read_b32 v[vgprValuC+69], acc56 // copy acc to vreg[49]
v_accvgpr_read_b32 v[vgprValuC+70], acc41 // copy acc to vreg[50]
v_accvgpr_read_b32 v[vgprValuC+71], acc57 // copy acc to vreg[51]
v_accvgpr_read_b32 v[vgprValuC+72], acc42 // copy acc to vreg[52]
v_accvgpr_read_b32 v[vgprValuC+73], acc58 // copy acc to vreg[53]
v_accvgpr_read_b32 v[vgprValuC+74], acc43 // copy acc to vreg[54]
v_accvgpr_read_b32 v[vgprValuC+75], acc59 // copy acc to vreg[55]
v_accvgpr_read_b32 v[vgprValuC+80], acc44 // copy acc to vreg[56]
v_accvgpr_read_b32 v[vgprValuC+81], acc60 // copy acc to vreg[57]
v_accvgpr_read_b32 v[vgprValuC+82], acc45 // copy acc to vreg[58]
v_accvgpr_read_b32 v[vgprValuC+83], acc61 // copy acc to vreg[59]
v_accvgpr_read_b32 v[vgprValuC+84], acc46 // copy acc to vreg[60]
v_accvgpr_read_b32 v[vgprValuC+85], acc62 // copy acc to vreg[61]
v_accvgpr_read_b32 v[vgprValuC+86], acc47 // copy acc to vreg[62]
v_accvgpr_read_b32 v[vgprValuC+87], acc63 // copy acc to vreg[63]
v_accvgpr_read_b32 v[vgprValuC+88], acc64 // copy acc to vreg[64]
v_accvgpr_read_b32 v[vgprValuC+89], acc80 // copy acc to vreg[65]
v_accvgpr_read_b32 v[vgprValuC+90], acc65 // copy acc to vreg[66]
v_accvgpr_read_b32 v[vgprValuC+91], acc81 // copy acc to vreg[67]
v_accvgpr_read_b32 v[vgprValuC+92], acc66 // copy acc to vreg[68]
v_accvgpr_read_b32 v[vgprValuC+93], acc82 // copy acc to vreg[69]
v_accvgpr_read_b32 v[vgprValuC+94], acc67 // copy acc to vreg[70]
v_accvgpr_read_b32 v[vgprValuC+95], acc83 // copy acc to vreg[71]
v_accvgpr_read_b32 v[vgprValuC+104], acc68 // copy acc to vreg[72]
v_accvgpr_read_b32 v[vgprValuC+105], acc84 // copy acc to vreg[73]
v_accvgpr_read_b32 v[vgprValuC+106], acc69 // copy acc to vreg[74]
v_accvgpr_read_b32 v[vgprValuC+107], acc85 // copy acc to vreg[75]
v_accvgpr_read_b32 v[vgprValuC+108], acc70 // copy acc to vreg[76]
v_accvgpr_read_b32 v[vgprValuC+109], acc86 // copy acc to vreg[77]
v_accvgpr_read_b32 v[vgprValuC+110], acc71 // copy acc to vreg[78]
v_accvgpr_read_b32 v[vgprValuC+111], acc87 // copy acc to vreg[79]
v_accvgpr_read_b32 v[vgprValuC+112], acc72 // copy acc to vreg[80]
v_accvgpr_read_b32 v[vgprValuC+113], acc88 // copy acc to vreg[81]
v_accvgpr_read_b32 v[vgprValuC+114], acc73 // copy acc to vreg[82]
v_accvgpr_read_b32 v[vgprValuC+115], acc89 // copy acc to vreg[83]
v_accvgpr_read_b32 v[vgprValuC+116], acc74 // copy acc to vreg[84]
v_accvgpr_read_b32 v[vgprValuC+117], acc90 // copy acc to vreg[85]
v_accvgpr_read_b32 v[vgprValuC+118], acc75 // copy acc to vreg[86]
v_accvgpr_read_b32 v[vgprValuC+119], acc91 // copy acc to vreg[87]
v_accvgpr_read_b32 v[vgprValuC+120], acc76 // copy acc to vreg[88]
v_accvgpr_read_b32 v[vgprValuC+121], acc92 // copy acc to vreg[89]
v_accvgpr_read_b32 v[vgprValuC+122], acc77 // copy acc to vreg[90]
v_accvgpr_read_b32 v[vgprValuC+123], acc93 // copy acc to vreg[91]
v_accvgpr_read_b32 v[vgprValuC+128], acc78 // copy acc to vreg[92]
v_accvgpr_read_b32 v[vgprValuC+129], acc94 // copy acc to vreg[93]
v_accvgpr_read_b32 v[vgprValuC+130], acc79 // copy acc to vreg[94]
v_accvgpr_read_b32 v[vgprValuC+131], acc95 // copy acc to vreg[95]
v_accvgpr_read_b32 v[vgprValuC+132], acc96 // copy acc to vreg[96]
v_accvgpr_read_b32 v[vgprValuC+133], acc112 // copy acc to vreg[97]
v_accvgpr_read_b32 v[vgprValuC+134], acc97 // copy acc to vreg[98]
v_accvgpr_read_b32 v[vgprValuC+135], acc113 // copy acc to vreg[99]
v_accvgpr_read_b32 v[vgprValuC+136], acc98 // copy acc to vreg[100]
v_accvgpr_read_b32 v[vgprValuC+137], acc114 // copy acc to vreg[101]
v_accvgpr_read_b32 v[vgprValuC+138], acc99 // copy acc to vreg[102]
v_accvgpr_read_b32 v[vgprValuC+139], acc115 // copy acc to vreg[103]
v_accvgpr_read_b32 v[vgprValuC+140], acc100 // copy acc to vreg[104]
v_accvgpr_read_b32 v[vgprValuC+141], acc116 // copy acc to vreg[105]
v_accvgpr_read_b32 v[vgprValuC+142], acc101 // copy acc to vreg[106]
v_accvgpr_read_b32 v[vgprValuC+143], acc117 // copy acc to vreg[107]
v_accvgpr_read_b32 v[vgprValuC+148], acc102 // copy acc to vreg[108]
v_accvgpr_read_b32 v[vgprValuC+149], acc118 // copy acc to vreg[109]
v_accvgpr_read_b32 v[vgprValuC+150], acc103 // copy acc to vreg[110]
v_accvgpr_read_b32 v[vgprValuC+151], acc119 // copy acc to vreg[111]
v_accvgpr_read_b32 v[vgprValuC+152], acc104 // copy acc to vreg[112]
v_accvgpr_read_b32 v[vgprValuC+153], acc120 // copy acc to vreg[113]
v_accvgpr_read_b32 v[vgprValuC+154], acc105 // copy acc to vreg[114]
v_accvgpr_read_b32 v[vgprValuC+155], acc121 // copy acc to vreg[115]
v_accvgpr_read_b32 v[vgprValuC+156], acc106 // copy acc to vreg[116]
v_accvgpr_read_b32 v[vgprValuC+157], acc122 // copy acc to vreg[117]
v_accvgpr_read_b32 v[vgprValuC+158], acc107 // copy acc to vreg[118]
v_accvgpr_read_b32 v[vgprValuC+159], acc123 // copy acc to vreg[119]
v_accvgpr_read_b32 v[vgprValuC+160], acc108 // copy acc to vreg[120]
v_accvgpr_read_b32 v[vgprValuC+161], acc124 // copy acc to vreg[121]
v_accvgpr_read_b32 v[vgprValuC+162], acc109 // copy acc to vreg[122]
v_accvgpr_read_b32 v[vgprValuC+163], acc125 // copy acc to vreg[123]
v_accvgpr_read_b32 v[vgprValuC+168], acc110 // copy acc to vreg[124]
v_accvgpr_read_b32 v[vgprValuC+169], acc126 // copy acc to vreg[125]
v_accvgpr_read_b32 v[vgprValuC+170], acc111 // copy acc to vreg[126]
v_accvgpr_read_b32 v[vgprValuC+171], acc127 // copy acc to vreg[127]
v_accvgpr_read_b32 v[vgprValuC+172], acc128 // copy acc to vreg[128]
v_accvgpr_read_b32 v[vgprValuC+173], acc144 // copy acc to vreg[129]
v_accvgpr_read_b32 v[vgprValuC+174], acc129 // copy acc to vreg[130]
v_accvgpr_read_b32 v[vgprValuC+175], acc145 // copy acc to vreg[131]
v_accvgpr_read_b32 v[vgprValuC+176], acc130 // copy acc to vreg[132]
v_accvgpr_read_b32 v[vgprValuC+177], acc146 // copy acc to vreg[133]
v_accvgpr_read_b32 v[vgprValuC+178], acc131 // copy acc to vreg[134]
v_accvgpr_read_b32 v[vgprValuC+179], acc147 // copy acc to vreg[135]
v_accvgpr_read_b32 v[vgprValuC+180], acc132 // copy acc to vreg[136]
v_accvgpr_read_b32 v[vgprValuC+181], acc148 // copy acc to vreg[137]
v_accvgpr_read_b32 v[vgprValuC+182], acc133 // copy acc to vreg[138]
v_accvgpr_read_b32 v[vgprValuC+183], acc149 // copy acc to vreg[139]
v_accvgpr_read_b32 v[vgprValuC+188], acc134 // copy acc to vreg[140]
v_accvgpr_read_b32 v[vgprValuC+189], acc150 // copy acc to vreg[141]
v_accvgpr_read_b32 v[vgprValuC+190], acc135 // copy acc to vreg[142]
v_accvgpr_read_b32 v[vgprValuC+191], acc151 // copy acc to vreg[143]
v_accvgpr_read_b32 v[vgprValuC+192], acc136 // copy acc to vreg[144]
v_accvgpr_read_b32 v[vgprValuC+193], acc152 // copy acc to vreg[145]
v_accvgpr_read_b32 v[vgprValuC+194], acc137 // copy acc to vreg[146]
v_accvgpr_read_b32 v[vgprValuC+195], acc153 // copy acc to vreg[147]
v_accvgpr_read_b32 v[vgprValuC+196], acc138 // copy acc to vreg[148]
v_accvgpr_read_b32 v[vgprValuC+197], acc154 // copy acc to vreg[149]
v_accvgpr_read_b32 v[vgprValuC+198], acc139 // copy acc to vreg[150]
v_accvgpr_read_b32 v[vgprValuC+199], acc155 // copy acc to vreg[151]
v_accvgpr_read_b32 v[vgprValuC+200], acc140 // copy acc to vreg[152]
v_accvgpr_read_b32 v[vgprValuC+201], acc156 // copy acc to vreg[153]
v_accvgpr_read_b32 v[vgprValuC+202], acc141 // copy acc to vreg[154]
v_accvgpr_read_b32 v[vgprValuC+203], acc157 // copy acc to vreg[155]
v_accvgpr_read_b32 v[vgprValuC+208], acc142 // copy acc to vreg[156]
v_accvgpr_read_b32 v[vgprValuC+209], acc158 // copy acc to vreg[157]
v_accvgpr_read_b32 v[vgprValuC+210], acc143 // copy acc to vreg[158]
v_accvgpr_read_b32 v[vgprValuC+211], acc159 // copy acc to vreg[159]
v_accvgpr_read_b32 v[vgprValuC+212], acc160 // copy acc to vreg[160]
v_accvgpr_read_b32 v[vgprValuC+213], acc176 // copy acc to vreg[161]
v_accvgpr_read_b32 v[vgprValuC+214], acc161 // copy acc to vreg[162]
v_accvgpr_read_b32 v[vgprValuC+215], acc177 // copy acc to vreg[163]
v_accvgpr_read_b32 v[vgprValuC+216], acc162 // copy acc to vreg[164]
v_accvgpr_read_b32 v[vgprValuC+217], acc178 // copy acc to vreg[165]
v_accvgpr_read_b32 v[vgprValuC+218], acc163 // copy acc to vreg[166]
v_accvgpr_read_b32 v[vgprValuC+219], acc179 // copy acc to vreg[167]
v_accvgpr_read_b32 v[vgprValuC+220], acc164 // copy acc to vreg[168]
v_accvgpr_read_b32 v[vgprValuC+221], acc180 // copy acc to vreg[169]
v_accvgpr_read_b32 v[vgprValuC+222], acc165 // copy acc to vreg[170]
v_accvgpr_read_b32 v[vgprValuC+223], acc181 // copy acc to vreg[171]
v_accvgpr_read_b32 v[vgprValuC+228], acc166 // copy acc to vreg[172]
v_accvgpr_read_b32 v[vgprValuC+229], acc182 // copy acc to vreg[173]
v_accvgpr_read_b32 v[vgprValuC+230], acc167 // copy acc to vreg[174]
v_accvgpr_read_b32 v[vgprValuC+231], acc183 // copy acc to vreg[175]
v_accvgpr_read_b32 v[vgprValuC+232], acc168 // copy acc to vreg[176]
v_accvgpr_read_b32 v[vgprValuC+233], acc184 // copy acc to vreg[177]
v_accvgpr_read_b32 v[vgprValuC+234], acc169 // copy acc to vreg[178]
v_accvgpr_read_b32 v[vgprValuC+235], acc185 // copy acc to vreg[179]
v_accvgpr_read_b32 v[vgprValuC+236], acc170 // copy acc to vreg[180]
v_accvgpr_read_b32 v[vgprValuC+237], acc186 // copy acc to vreg[181]
v_accvgpr_read_b32 v[vgprValuC+238], acc171 // copy acc to vreg[182]
v_accvgpr_read_b32 v[vgprValuC+239], acc187 // copy acc to vreg[183]
v_accvgpr_read_b32 v[vgprValuC+240], acc172 // copy acc to vreg[184]
v_accvgpr_read_b32 v[vgprValuC+241], acc188 // copy acc to vreg[185]
v_accvgpr_read_b32 v[vgprValuC+242], acc173 // copy acc to vreg[186]
v_accvgpr_read_b32 v[vgprValuC+243], acc189 // copy acc to vreg[187]
v_accvgpr_read_b32 v[vgprValuC+248], acc174 // copy acc to vreg[188]
v_accvgpr_read_b32 v[vgprValuC+249], acc190 // copy acc to vreg[189]
v_accvgpr_read_b32 v[vgprValuC+250], acc175 // copy acc to vreg[190]
v_accvgpr_read_b32 v[vgprValuC+251], acc191 // copy acc to vreg[191]
s_nop 1                                            // 2 wait states required before reading vgpr

/* rC *= alpha batchElements=[(0, 0, 0, 0), (0, 0, 0, 4), (0, 1, 0, 0), (0, 1, 0, 4), (0, 2, 0, 0), (0, 2, 0, 4), (0, 3, 0, 0), (0, 3, 0, 4), (0, 4, 0, 0), (0, 4, 0, 4), (0, 5, 0, 0), (0, 5, 0, 4), (0, 6, 0, 0), (0, 6, 0, 4), (0, 7, 0, 0), (0, 7, 0, 4), (0, 0, 1, 0), (0, 0, 1, 4), (0, 1, 1, 0), (0, 1, 1, 4), (0, 2, 1, 0), (0, 2, 1, 4), (0, 3, 1, 0), (0, 3, 1, 4), (0, 4, 1, 0), (0, 4, 1, 4), (0, 5, 1, 0), (0, 5, 1, 4), (0, 6, 1, 0), (0, 6, 1, 4), (0, 7, 1, 0), (0, 7, 1, 4), (1, 0, 0, 0), (1, 0, 0, 4), (1, 1, 0, 0), (1, 1, 0, 4), (1, 2, 0, 0), (1, 2, 0, 4), (1, 3, 0, 0), (1, 3, 0, 4), (1, 4, 0, 0), (1, 4, 0, 4), (1, 5, 0, 0), (1, 5, 0, 4), (1, 6, 0, 0), (1, 6, 0, 4), (1, 7, 0, 0), (1, 7, 0, 4)] */

/* apply mask, calc new C and issue writes */
_buffer_store_b128 v[8:11], v6, s[sgprSrdD:sgprSrdD+3], 0, offen, offset:0 // store D
_buffer_store_b128 v[12:15], v7, s[sgprSrdD:sgprSrdD+3], 0, offen, offset:0 // store D
	;; [unrolled: 1-line block ×48, first 2 shown]
s_nop 0                                            // 1 wait state required when next inst writes vgprs held by previous dwordx4 store inst
/* optSingleColVgpr=0 optSharedColVgpr=0 optSGPRUsage=BufferLoad_Edge_Mask optSrdIncForRow=0 */

/******************************************/
/* Global Write Alpha Edge Batch #1 (d1,d0,vc1,vc0) = */
/*    (1,0,1,0:vw4); (1,0,1,4:vw4); (1,1,1,0:vw4); (1,1,1,4:vw4); (1,2,1,0:vw4); (1,2,1,4:vw4); (1,3,1,0:vw4); (1,3,1,4:vw4); (1,4,1,0:vw4); (1,4,1,4:vw4); (1,5,1,0:vw4); (1,5,1,4:vw4); (1,6,1,0:vw4); (1,6,1,4:vw4); (1,7,1,0:vw4); (1,7,1,4:vw4) */
/******************************************/

/* calc coords, apply mask, and issue loads (if necessary) */
/* (d1,vc1,d0,vc0)=(1,1,0,0) */
_v_add_co_u32 v1, vcc, v1, 1                       // coord1.1: coord1Vgpr += d1*sg1*VW + vc1

/* Fix for UseInitialStridesCD, emitAddressSetupCode */
_v_add_u32 v2, v2, s[sgprStrideC1J]                // ROWINC- Move cinRowPtr to next row
_v_add_u32 v3, v3, s[sgprStrideD1J]                // Move coutRowPtr to next row
v_cmp_lt_u32 s[56:57], v0, s[sgprSizeI]            // coord0 < size0
v_cmp_lt_u32 s[60:61], v1, s[sgprSizeJ]            // coord1 < size1
s_and_b64 s[60:61], s[56:57], s[60:61]             // in0 && in1
_v_add_lshl_u32 v6, v3, v0, 0x2                    // scaleToBpe: accumulate d0 lower and *= bpe into Cin addr
v_cndmask_b32 v6, -1, v6, s[60:61]                 // LDD clip if OOB. offset
/* (d1,vc1,d0,vc0)=(1,1,0,4) */
_v_add_co_u32 v4, vcc, v0, 4                       // coord0.1: coord0 += d0*sg0*VW + vc0
v_cmp_lt_u32 s[56:57], v4, s[sgprSizeI]            // coord0 < size0
v_cmp_lt_u32 s[60:61], v1, s[sgprSizeJ]            // coord1 < size1
s_and_b64 s[60:61], s[56:57], s[60:61]             // in0 && in1
_v_add_lshl_u32 v7, v3, v4, 0x2                    // scaleToBpe: accumulate d0 lower and *= bpe into Cin addr
v_cndmask_b32 v7, -1, v7, s[60:61]                 // LDD clip if OOB. offset
/* (d1,vc1,d0,vc0)=(1,1,1,0) */
_v_add_co_u32 v4, vcc, v0, 16                      // coord0.1: coord0 += d0*sg0*VW + vc0
v_cmp_lt_u32 s[56:57], v4, s[sgprSizeI]            // coord0 < size0
v_cmp_lt_u32 s[60:61], v1, s[sgprSizeJ]            // coord1 < size1
s_and_b64 s[60:61], s[56:57], s[60:61]             // in0 && in1
_v_add_lshl_u32 v16, v3, v4, 0x2                   // scaleToBpe: accumulate d0 lower and *= bpe into Cin addr
v_cndmask_b32 v16, -1, v16, s[60:61]               // LDD clip if OOB. offset
/* (d1,vc1,d0,vc0)=(1,1,1,4) */
_v_add_co_u32 v4, vcc, v0, 20                      // coord0.1: coord0 += d0*sg0*VW + vc0
v_cmp_lt_u32 s[56:57], v4, s[sgprSizeI]            // coord0 < size0
v_cmp_lt_u32 s[60:61], v1, s[sgprSizeJ]            // coord1 < size1
s_and_b64 s[60:61], s[56:57], s[60:61]             // in0 && in1
_v_add_lshl_u32 v17, v3, v4, 0x2                   // scaleToBpe: accumulate d0 lower and *= bpe into Cin addr
v_cndmask_b32 v17, -1, v17, s[60:61]               // LDD clip if OOB. offset
	;; [unrolled: 7-line block ×6, first 2 shown]
/* (d1,vc1,d0,vc0)=(1,1,4,0) */
s_mov_b32 s56, 128                                 // coordOffset0 d0=4 vc0=0
_v_add_co_u32 v4, vcc, v0, s56                     // coord0.2: coord0 += d0*sg0*VW + vc0
v_cmp_lt_u32 s[56:57], v4, s[sgprSizeI]            // coord0 < size0
v_cmp_lt_u32 s[60:61], v1, s[sgprSizeJ]            // coord1 < size1
s_and_b64 s[60:61], s[56:57], s[60:61]             // in0 && in1
_v_add_lshl_u32 v38, v3, v4, 0x2                   // scaleToBpe: accumulate d0 lower and *= bpe into Cin addr
v_cndmask_b32 v38, -1, v38, s[60:61]               // LDD clip if OOB. offset
/* (d1,vc1,d0,vc0)=(1,1,4,4) */
s_mov_b32 s56, 132                                 // coordOffset0 d0=4 vc0=4
_v_add_co_u32 v4, vcc, v0, s56                     // coord0.2: coord0 += d0*sg0*VW + vc0
v_cmp_lt_u32 s[56:57], v4, s[sgprSizeI]            // coord0 < size0
v_cmp_lt_u32 s[60:61], v1, s[sgprSizeJ]            // coord1 < size1
s_and_b64 s[60:61], s[56:57], s[60:61]             // in0 && in1
_v_add_lshl_u32 v39, v3, v4, 0x2                   // scaleToBpe: accumulate d0 lower and *= bpe into Cin addr
v_cndmask_b32 v39, -1, v39, s[60:61]               // LDD clip if OOB. offset
	;; [unrolled: 8-line block ×8, first 2 shown]
v_accvgpr_read_b32 v[vgprValuC+8], acc192 // copy acc to vreg[192]
v_accvgpr_read_b32 v[vgprValuC+9], acc208 // copy acc to vreg[193]
v_accvgpr_read_b32 v[vgprValuC+10], acc193 // copy acc to vreg[194]
v_accvgpr_read_b32 v[vgprValuC+11], acc209 // copy acc to vreg[195]
v_accvgpr_read_b32 v[vgprValuC+12], acc194 // copy acc to vreg[196]
v_accvgpr_read_b32 v[vgprValuC+13], acc210 // copy acc to vreg[197]
v_accvgpr_read_b32 v[vgprValuC+14], acc195 // copy acc to vreg[198]
v_accvgpr_read_b32 v[vgprValuC+15], acc211 // copy acc to vreg[199]
v_accvgpr_read_b32 v[vgprValuC+20], acc196 // copy acc to vreg[200]
v_accvgpr_read_b32 v[vgprValuC+21], acc212 // copy acc to vreg[201]
v_accvgpr_read_b32 v[vgprValuC+22], acc197 // copy acc to vreg[202]
v_accvgpr_read_b32 v[vgprValuC+23], acc213 // copy acc to vreg[203]
v_accvgpr_read_b32 v[vgprValuC+24], acc198 // copy acc to vreg[204]
v_accvgpr_read_b32 v[vgprValuC+25], acc214 // copy acc to vreg[205]
v_accvgpr_read_b32 v[vgprValuC+26], acc199 // copy acc to vreg[206]
v_accvgpr_read_b32 v[vgprValuC+27], acc215 // copy acc to vreg[207]
v_accvgpr_read_b32 v[vgprValuC+28], acc200 // copy acc to vreg[208]
v_accvgpr_read_b32 v[vgprValuC+29], acc216 // copy acc to vreg[209]
v_accvgpr_read_b32 v[vgprValuC+30], acc201 // copy acc to vreg[210]
v_accvgpr_read_b32 v[vgprValuC+31], acc217 // copy acc to vreg[211]
v_accvgpr_read_b32 v[vgprValuC+32], acc202 // copy acc to vreg[212]
v_accvgpr_read_b32 v[vgprValuC+33], acc218 // copy acc to vreg[213]
v_accvgpr_read_b32 v[vgprValuC+34], acc203 // copy acc to vreg[214]
v_accvgpr_read_b32 v[vgprValuC+35], acc219 // copy acc to vreg[215]
v_accvgpr_read_b32 v[vgprValuC+40], acc204 // copy acc to vreg[216]
v_accvgpr_read_b32 v[vgprValuC+41], acc220 // copy acc to vreg[217]
v_accvgpr_read_b32 v[vgprValuC+42], acc205 // copy acc to vreg[218]
v_accvgpr_read_b32 v[vgprValuC+43], acc221 // copy acc to vreg[219]
v_accvgpr_read_b32 v[vgprValuC+44], acc206 // copy acc to vreg[220]
v_accvgpr_read_b32 v[vgprValuC+45], acc222 // copy acc to vreg[221]
v_accvgpr_read_b32 v[vgprValuC+46], acc207 // copy acc to vreg[222]
v_accvgpr_read_b32 v[vgprValuC+47], acc223 // copy acc to vreg[223]
v_accvgpr_read_b32 v[vgprValuC+48], acc224 // copy acc to vreg[224]
v_accvgpr_read_b32 v[vgprValuC+49], acc240 // copy acc to vreg[225]
v_accvgpr_read_b32 v[vgprValuC+50], acc225 // copy acc to vreg[226]
v_accvgpr_read_b32 v[vgprValuC+51], acc241 // copy acc to vreg[227]
v_accvgpr_read_b32 v[vgprValuC+52], acc226 // copy acc to vreg[228]
v_accvgpr_read_b32 v[vgprValuC+53], acc242 // copy acc to vreg[229]
v_accvgpr_read_b32 v[vgprValuC+54], acc227 // copy acc to vreg[230]
v_accvgpr_read_b32 v[vgprValuC+55], acc243 // copy acc to vreg[231]
v_accvgpr_read_b32 v[vgprValuC+60], acc228 // copy acc to vreg[232]
v_accvgpr_read_b32 v[vgprValuC+61], acc244 // copy acc to vreg[233]
v_accvgpr_read_b32 v[vgprValuC+62], acc229 // copy acc to vreg[234]
v_accvgpr_read_b32 v[vgprValuC+63], acc245 // copy acc to vreg[235]
v_accvgpr_read_b32 v[vgprValuC+64], acc230 // copy acc to vreg[236]
v_accvgpr_read_b32 v[vgprValuC+65], acc246 // copy acc to vreg[237]
v_accvgpr_read_b32 v[vgprValuC+66], acc231 // copy acc to vreg[238]
v_accvgpr_read_b32 v[vgprValuC+67], acc247 // copy acc to vreg[239]
v_accvgpr_read_b32 v[vgprValuC+68], acc232 // copy acc to vreg[240]
v_accvgpr_read_b32 v[vgprValuC+69], acc248 // copy acc to vreg[241]
v_accvgpr_read_b32 v[vgprValuC+70], acc233 // copy acc to vreg[242]
v_accvgpr_read_b32 v[vgprValuC+71], acc249 // copy acc to vreg[243]
v_accvgpr_read_b32 v[vgprValuC+72], acc234 // copy acc to vreg[244]
v_accvgpr_read_b32 v[vgprValuC+73], acc250 // copy acc to vreg[245]
v_accvgpr_read_b32 v[vgprValuC+74], acc235 // copy acc to vreg[246]
v_accvgpr_read_b32 v[vgprValuC+75], acc251 // copy acc to vreg[247]
v_accvgpr_read_b32 v[vgprValuC+80], acc236 // copy acc to vreg[248]
v_accvgpr_read_b32 v[vgprValuC+81], acc252 // copy acc to vreg[249]
v_accvgpr_read_b32 v[vgprValuC+82], acc237 // copy acc to vreg[250]
v_accvgpr_read_b32 v[vgprValuC+83], acc253 // copy acc to vreg[251]
v_accvgpr_read_b32 v[vgprValuC+84], acc238 // copy acc to vreg[252]
v_accvgpr_read_b32 v[vgprValuC+85], acc254 // copy acc to vreg[253]
v_accvgpr_read_b32 v[vgprValuC+86], acc239 // copy acc to vreg[254]
v_accvgpr_read_b32 v[vgprValuC+87], acc255 // copy acc to vreg[255]
s_nop 1                                            // 2 wait states required before reading vgpr

/* rC *= alpha batchElements=[(1, 0, 1, 0), (1, 0, 1, 4), (1, 1, 1, 0), (1, 1, 1, 4), (1, 2, 1, 0), (1, 2, 1, 4), (1, 3, 1, 0), (1, 3, 1, 4), (1, 4, 1, 0), (1, 4, 1, 4), (1, 5, 1, 0), (1, 5, 1, 4), (1, 6, 1, 0), (1, 6, 1, 4), (1, 7, 1, 0), (1, 7, 1, 4)] */

/* apply mask, calc new C and issue writes */
_buffer_store_b128 v[8:11], v6, s[sgprSrdD:sgprSrdD+3], 0, offen, offset:0 // store D
_buffer_store_b128 v[12:15], v7, s[sgprSrdD:sgprSrdD+3], 0, offen, offset:0 // store D
	;; [unrolled: 1-line block ×16, first 2 shown]
s_nop 0                                            // 1 wait state required when next inst writes vgprs held by previous dwordx4 store inst
s_branch label_GW_End_25                           // jump to end
label_GW_End_25:

label_0030:  /// KernelEnd
s_endpgm                                           // Kernel End

